;; amdgpu-corpus repo=ROCm/rocFFT kind=compiled arch=gfx1100 opt=O3
	.text
	.amdgcn_target "amdgcn-amd-amdhsa--gfx1100"
	.amdhsa_code_object_version 6
	.protected	bluestein_single_fwd_len1275_dim1_sp_op_CI_CI ; -- Begin function bluestein_single_fwd_len1275_dim1_sp_op_CI_CI
	.globl	bluestein_single_fwd_len1275_dim1_sp_op_CI_CI
	.p2align	8
	.type	bluestein_single_fwd_len1275_dim1_sp_op_CI_CI,@function
bluestein_single_fwd_len1275_dim1_sp_op_CI_CI: ; @bluestein_single_fwd_len1275_dim1_sp_op_CI_CI
; %bb.0:
	s_load_b128 s[4:7], s[0:1], 0x28
	v_mul_u32_u24_e32 v1, 0x304, v0
	s_mov_b32 s2, exec_lo
	s_delay_alu instid0(VALU_DEP_1) | instskip(NEXT) | instid1(VALU_DEP_1)
	v_lshrrev_b32_e32 v1, 16, v1
	v_mad_u64_u32 v[100:101], null, s15, 3, v[1:2]
	v_mov_b32_e32 v101, 0
                                        ; kill: def $vgpr2 killed $sgpr0 killed $exec
	s_waitcnt lgkmcnt(0)
	s_delay_alu instid0(VALU_DEP_1)
	v_cmpx_gt_u64_e64 s[4:5], v[100:101]
	s_cbranch_execz .LBB0_15
; %bb.1:
	v_mul_hi_u32 v2, 0xaaaaaaab, v100
	s_clause 0x1
	s_load_b64 s[12:13], s[0:1], 0x0
	s_load_b64 s[14:15], s[0:1], 0x38
	v_mul_lo_u16 v1, 0x55, v1
	s_delay_alu instid0(VALU_DEP_1) | instskip(NEXT) | instid1(VALU_DEP_3)
	v_sub_nc_u16 v0, v0, v1
	v_lshrrev_b32_e32 v2, 1, v2
	s_delay_alu instid0(VALU_DEP_2) | instskip(NEXT) | instid1(VALU_DEP_2)
	v_and_b32_e32 v104, 0xffff, v0
	v_lshl_add_u32 v2, v2, 1, v2
	v_cmp_gt_u16_e32 vcc_lo, 0x4b, v0
	s_delay_alu instid0(VALU_DEP_3) | instskip(NEXT) | instid1(VALU_DEP_3)
	v_lshlrev_b32_e32 v103, 3, v104
	v_sub_nc_u32_e32 v1, v100, v2
	s_delay_alu instid0(VALU_DEP_1) | instskip(NEXT) | instid1(VALU_DEP_1)
	v_mul_u32_u24_e32 v50, 0x4fb, v1
	v_lshlrev_b32_e32 v105, 3, v50
	s_and_saveexec_b32 s3, vcc_lo
	s_cbranch_execz .LBB0_3
; %bb.2:
	s_load_b64 s[4:5], s[0:1], 0x18
	s_waitcnt lgkmcnt(0)
	v_add_co_u32 v22, s2, s12, v103
	s_delay_alu instid0(VALU_DEP_1)
	v_add_co_ci_u32_e64 v23, null, s13, 0, s2
	s_load_b128 s[8:11], s[4:5], 0x0
	s_clause 0x3
	global_load_b64 v[4:5], v103, s[12:13]
	global_load_b64 v[6:7], v103, s[12:13] offset:600
	global_load_b64 v[8:9], v103, s[12:13] offset:1200
	;; [unrolled: 1-line block ×3, first 2 shown]
	s_waitcnt lgkmcnt(0)
	v_mad_u64_u32 v[0:1], null, s10, v100, 0
	v_mad_u64_u32 v[2:3], null, s8, v104, 0
	s_mul_i32 s4, s9, 0x258
	s_mul_hi_u32 s5, s8, 0x258
	s_delay_alu instid0(SALU_CYCLE_1) | instskip(NEXT) | instid1(VALU_DEP_1)
	s_add_i32 s5, s5, s4
	v_mad_u64_u32 v[12:13], null, s11, v100, v[1:2]
	s_clause 0x2
	global_load_b64 v[13:14], v103, s[12:13] offset:2400
	global_load_b64 v[15:16], v103, s[12:13] offset:3000
	global_load_b64 v[17:18], v103, s[12:13] offset:3600
	v_mov_b32_e32 v1, v12
	v_lshl_add_u32 v12, v104, 3, v105
	s_delay_alu instid0(VALU_DEP_2) | instskip(SKIP_3) | instid1(VALU_DEP_1)
	v_lshlrev_b64 v[0:1], 3, v[0:1]
	s_waitcnt vmcnt(6)
	v_mad_u64_u32 v[19:20], null, s9, v104, v[3:4]
	v_add_co_u32 v20, s2, 0x1000, v22
	v_add_co_ci_u32_e64 v21, s2, 0, v23, s2
	v_add_co_u32 v22, s2, 0x2000, v22
	s_delay_alu instid0(VALU_DEP_4) | instskip(SKIP_2) | instid1(VALU_DEP_3)
	v_mov_b32_e32 v3, v19
	v_add_co_ci_u32_e64 v23, s2, 0, v23, s2
	v_add_co_u32 v0, s2, s6, v0
	v_lshlrev_b64 v[2:3], 3, v[2:3]
	v_add_co_ci_u32_e64 v1, s2, s7, v1, s2
	s_mul_i32 s6, s8, 0x258
	s_clause 0x6
	global_load_b64 v[24:25], v[20:21], off offset:104
	global_load_b64 v[26:27], v[20:21], off offset:704
	;; [unrolled: 1-line block ×7, first 2 shown]
	v_add_co_u32 v0, s2, v0, v2
	s_delay_alu instid0(VALU_DEP_1) | instskip(SKIP_2) | instid1(VALU_DEP_1)
	v_add_co_ci_u32_e64 v1, s2, v1, v3, s2
	global_load_b64 v[38:39], v[22:23], off offset:208
	v_add_co_u32 v2, s2, v0, s6
	v_add_co_ci_u32_e64 v3, s2, s5, v1, s2
	global_load_b64 v[0:1], v[0:1], off
	v_add_co_u32 v36, s2, v2, s6
	s_delay_alu instid0(VALU_DEP_1) | instskip(NEXT) | instid1(VALU_DEP_2)
	v_add_co_ci_u32_e64 v37, s2, s5, v3, s2
	v_add_co_u32 v40, s2, v36, s6
	s_delay_alu instid0(VALU_DEP_1) | instskip(NEXT) | instid1(VALU_DEP_2)
	v_add_co_ci_u32_e64 v41, s2, s5, v37, s2
	v_add_co_u32 v42, s2, v40, s6
	s_delay_alu instid0(VALU_DEP_1)
	v_add_co_ci_u32_e64 v43, s2, s5, v41, s2
	s_clause 0x2
	global_load_b64 v[2:3], v[2:3], off
	global_load_b64 v[36:37], v[36:37], off
	;; [unrolled: 1-line block ×3, first 2 shown]
	v_add_co_u32 v44, s2, v42, s6
	s_delay_alu instid0(VALU_DEP_1) | instskip(SKIP_2) | instid1(VALU_DEP_1)
	v_add_co_ci_u32_e64 v45, s2, s5, v43, s2
	global_load_b64 v[42:43], v[42:43], off
	v_add_co_u32 v46, s2, v44, s6
	v_add_co_ci_u32_e64 v47, s2, s5, v45, s2
	global_load_b64 v[44:45], v[44:45], off
	v_add_co_u32 v48, s2, v46, s6
	s_delay_alu instid0(VALU_DEP_1) | instskip(SKIP_2) | instid1(VALU_DEP_1)
	v_add_co_ci_u32_e64 v49, s2, s5, v47, s2
	global_load_b64 v[46:47], v[46:47], off
	v_add_co_u32 v51, s2, v48, s6
	v_add_co_ci_u32_e64 v52, s2, s5, v49, s2
	global_load_b64 v[48:49], v[48:49], off
	v_add_co_u32 v53, s2, v51, s6
	s_delay_alu instid0(VALU_DEP_1) | instskip(SKIP_2) | instid1(VALU_DEP_1)
	v_add_co_ci_u32_e64 v54, s2, s5, v52, s2
	global_load_b64 v[51:52], v[51:52], off
	v_add_co_u32 v55, s2, v53, s6
	v_add_co_ci_u32_e64 v56, s2, s5, v54, s2
	global_load_b64 v[53:54], v[53:54], off
	v_add_co_u32 v57, s2, v55, s6
	s_delay_alu instid0(VALU_DEP_1) | instskip(SKIP_2) | instid1(VALU_DEP_1)
	v_add_co_ci_u32_e64 v58, s2, s5, v56, s2
	global_load_b64 v[55:56], v[55:56], off
	v_add_co_u32 v59, s2, v57, s6
	v_add_co_ci_u32_e64 v60, s2, s5, v58, s2
	global_load_b64 v[57:58], v[57:58], off
	v_add_co_u32 v61, s2, v59, s6
	s_delay_alu instid0(VALU_DEP_1) | instskip(SKIP_2) | instid1(VALU_DEP_1)
	v_add_co_ci_u32_e64 v62, s2, s5, v60, s2
	global_load_b64 v[59:60], v[59:60], off
	v_add_co_u32 v63, s2, v61, s6
	v_add_co_ci_u32_e64 v64, s2, s5, v62, s2
	global_load_b64 v[61:62], v[61:62], off
	v_add_co_u32 v65, s2, v63, s6
	s_delay_alu instid0(VALU_DEP_1) | instskip(SKIP_2) | instid1(VALU_DEP_1)
	v_add_co_ci_u32_e64 v66, s2, s5, v64, s2
	global_load_b64 v[63:64], v[63:64], off
	v_add_co_u32 v67, s2, v65, s6
	v_add_co_ci_u32_e64 v68, s2, s5, v66, s2
	global_load_b64 v[65:66], v[65:66], off
	s_clause 0x1
	global_load_b64 v[69:70], v[22:23], off offset:808
	global_load_b64 v[21:22], v[22:23], off offset:1408
	global_load_b64 v[67:68], v[67:68], off
	s_waitcnt vmcnt(18)
	v_mul_f32_e32 v71, v1, v5
	v_mul_f32_e32 v5, v0, v5
	s_delay_alu instid0(VALU_DEP_2) | instskip(NEXT) | instid1(VALU_DEP_2)
	v_fmac_f32_e32 v71, v0, v4
	v_fma_f32 v72, v1, v4, -v5
	s_waitcnt vmcnt(17)
	v_mul_f32_e32 v0, v3, v7
	v_add_nc_u32_e32 v23, v105, v103
	s_waitcnt vmcnt(15)
	v_mul_f32_e32 v4, v41, v11
	v_mul_f32_e32 v1, v2, v7
	v_dual_mul_f32 v5, v40, v11 :: v_dual_fmac_f32 v0, v2, v6
	v_dual_mul_f32 v2, v37, v9 :: v_dual_add_nc_u32 v73, 0x400, v23
	s_delay_alu instid0(VALU_DEP_4) | instskip(NEXT) | instid1(VALU_DEP_4)
	v_fmac_f32_e32 v4, v40, v10
	v_fma_f32 v1, v3, v6, -v1
	v_mul_f32_e32 v3, v36, v9
	s_delay_alu instid0(VALU_DEP_4)
	v_dual_fmac_f32 v2, v36, v8 :: v_dual_add_nc_u32 v75, 0x1000, v23
	s_waitcnt vmcnt(14)
	v_mul_f32_e32 v6, v43, v14
	v_fma_f32 v5, v41, v10, -v5
	v_fma_f32 v3, v37, v8, -v3
	s_waitcnt vmcnt(13)
	v_dual_mul_f32 v8, v45, v16 :: v_dual_mul_f32 v7, v42, v14
	s_waitcnt vmcnt(12)
	v_dual_mul_f32 v10, v47, v18 :: v_dual_mul_f32 v9, v44, v16
	v_mul_f32_e32 v11, v46, v18
	v_dual_fmac_f32 v6, v42, v13 :: v_dual_add_nc_u32 v77, 0x1c00, v23
	v_fmac_f32_e32 v8, v44, v15
	v_fma_f32 v7, v43, v13, -v7
	v_add_nc_u32_e32 v74, 0x800, v23
	ds_store_b64 v12, v[71:72]
	v_fmac_f32_e32 v10, v46, v17
	v_fma_f32 v9, v45, v15, -v9
	ds_store_2addr_b64 v23, v[0:1], v[2:3] offset0:75 offset1:150
	ds_store_2addr_b64 v73, v[4:5], v[6:7] offset0:97 offset1:172
	s_waitcnt vmcnt(11)
	v_mul_f32_e32 v0, v49, v25
	v_fma_f32 v11, v47, v17, -v11
	s_waitcnt vmcnt(9)
	v_mul_f32_e32 v4, v54, v29
	v_dual_mul_f32 v2, v52, v27 :: v_dual_mul_f32 v5, v53, v29
	v_mul_f32_e32 v1, v48, v25
	ds_store_2addr_b64 v74, v[8:9], v[10:11] offset0:119 offset1:194
	v_dual_mul_f32 v3, v51, v27 :: v_dual_fmac_f32 v0, v48, v24
	s_waitcnt vmcnt(8)
	v_mul_f32_e32 v6, v56, v31
	v_dual_mul_f32 v7, v55, v31 :: v_dual_fmac_f32 v4, v53, v28
	s_waitcnt vmcnt(7)
	v_mul_f32_e32 v8, v58, v33
	v_dual_mul_f32 v9, v57, v33 :: v_dual_fmac_f32 v2, v51, v26
	v_fma_f32 v1, v49, v24, -v1
	v_fma_f32 v3, v52, v26, -v3
	s_waitcnt vmcnt(6)
	v_mul_f32_e32 v10, v60, v35
	v_mul_f32_e32 v11, v59, v35
	v_fma_f32 v5, v54, v28, -v5
	v_fmac_f32_e32 v6, v55, v30
	v_fma_f32 v7, v56, v30, -v7
	s_waitcnt vmcnt(5)
	v_mul_f32_e32 v12, v62, v20
	v_mul_f32_e32 v13, v61, v20
	v_fmac_f32_e32 v8, v57, v32
	v_add_nc_u32_e32 v76, 0x1800, v23
	v_fma_f32 v9, v58, v32, -v9
	s_waitcnt vmcnt(4)
	v_mul_f32_e32 v15, v63, v39
	v_mul_f32_e32 v14, v64, v39
	v_fmac_f32_e32 v12, v61, v19
	v_fma_f32 v13, v62, v19, -v13
	s_waitcnt vmcnt(2)
	v_mul_f32_e32 v16, v66, v70
	v_mul_f32_e32 v17, v65, v70
	s_waitcnt vmcnt(0)
	v_mul_f32_e32 v18, v68, v22
	v_mul_f32_e32 v19, v67, v22
	v_fmac_f32_e32 v10, v59, v34
	v_fma_f32 v11, v60, v34, -v11
	v_fmac_f32_e32 v14, v63, v38
	v_fma_f32 v15, v64, v38, -v15
	;; [unrolled: 2-line block ×4, first 2 shown]
	v_add_nc_u32_e32 v20, 0x2000, v23
	ds_store_2addr_b64 v75, v[0:1], v[2:3] offset0:13 offset1:88
	ds_store_2addr_b64 v75, v[4:5], v[6:7] offset0:163 offset1:238
	;; [unrolled: 1-line block ×5, first 2 shown]
.LBB0_3:
	s_or_b32 exec_lo, exec_lo, s3
	s_clause 0x1
	s_load_b64 s[4:5], s[0:1], 0x20
	s_load_b64 s[2:3], s[0:1], 0x8
	v_mov_b32_e32 v4, 0
	v_mov_b32_e32 v5, 0
	s_waitcnt lgkmcnt(0)
	s_barrier
	buffer_gl0_inv
                                        ; implicit-def: $vgpr22
                                        ; implicit-def: $vgpr16
                                        ; implicit-def: $vgpr12
                                        ; implicit-def: $vgpr8
                                        ; implicit-def: $vgpr36
                                        ; implicit-def: $vgpr26
                                        ; implicit-def: $vgpr30
                                        ; implicit-def: $vgpr34
	s_and_saveexec_b32 s0, vcc_lo
	s_cbranch_execz .LBB0_5
; %bb.4:
	v_lshl_add_u32 v0, v50, 3, v103
	ds_load_2addr_b64 v[4:7], v0 offset1:75
	ds_load_2addr_b64 v[32:35], v0 offset0:150 offset1:225
	v_add_nc_u32_e32 v1, 0x800, v0
	v_add_nc_u32_e32 v2, 0xc00, v0
	;; [unrolled: 1-line block ×6, first 2 shown]
	ds_load_2addr_b64 v[28:31], v1 offset0:44 offset1:119
	ds_load_2addr_b64 v[24:27], v2 offset0:66 offset1:141
	;; [unrolled: 1-line block ×6, first 2 shown]
	ds_load_b64 v[36:37], v0 offset:9600
.LBB0_5:
	s_or_b32 exec_lo, exec_lo, s0
	s_waitcnt lgkmcnt(0)
	v_dual_sub_f32 v82, v7, v37 :: v_dual_sub_f32 v93, v6, v36
	v_add_f32_e32 v44, v36, v6
	v_dual_add_f32 v46, v37, v7 :: v_dual_add_f32 v45, v10, v32
	v_sub_f32_e32 v106, v32, v10
	s_delay_alu instid0(VALU_DEP_4) | instskip(SKIP_3) | instid1(VALU_DEP_4)
	v_mul_f32_e32 v61, 0xbeb8f4ab, v82
	v_mul_f32_e32 v63, 0xbeb8f4ab, v93
	v_sub_f32_e32 v83, v33, v11
	v_dual_mul_f32 v69, 0xbf2c7751, v82 :: v_dual_mul_f32 v76, 0xbf2c7751, v93
	v_fmamk_f32 v0, v44, 0x3f6eb680, v61
	s_delay_alu instid0(VALU_DEP_4) | instskip(NEXT) | instid1(VALU_DEP_4)
	v_fma_f32 v1, 0x3f6eb680, v46, -v63
	v_mul_f32_e32 v62, 0xbf2c7751, v83
	v_dual_sub_f32 v116, v34, v8 :: v_dual_sub_f32 v139, v28, v14
	s_delay_alu instid0(VALU_DEP_4) | instskip(NEXT) | instid1(VALU_DEP_4)
	v_dual_add_f32 v0, v0, v4 :: v_dual_add_f32 v47, v11, v33
	v_add_f32_e32 v1, v1, v5
	v_fma_f32 v3, 0x3f3d2fb0, v46, -v76
	v_mul_f32_e32 v80, 0xbf7ee86f, v106
	v_fmamk_f32 v2, v44, 0x3f3d2fb0, v69
	v_dual_sub_f32 v96, v35, v9 :: v_dual_add_f32 v49, v9, v35
	s_delay_alu instid0(VALU_DEP_4) | instskip(NEXT) | instid1(VALU_DEP_3)
	v_add_f32_e32 v3, v3, v5
	v_dual_mul_f32 v65, 0xbf2c7751, v106 :: v_dual_add_f32 v2, v2, v4
	v_fma_f32 v39, 0x3dbcf732, v47, -v80
	v_fmamk_f32 v38, v45, 0x3f3d2fb0, v62
	v_dual_mul_f32 v73, 0xbf7ee86f, v83 :: v_dual_add_f32 v48, v8, v34
	v_mul_f32_e32 v67, 0xbf65296c, v116
	s_delay_alu instid0(VALU_DEP_3) | instskip(SKIP_3) | instid1(VALU_DEP_3)
	v_dual_add_f32 v3, v39, v3 :: v_dual_add_f32 v0, v38, v0
	v_fma_f32 v38, 0x3f3d2fb0, v47, -v65
	v_dual_mul_f32 v90, 0xbe3c28d5, v139 :: v_dual_add_f32 v57, v16, v26
	v_dual_sub_f32 v170, v24, v18 :: v_dual_mul_f32 v77, 0xbf4c4adb, v96
	v_dual_add_f32 v1, v38, v1 :: v_dual_fmamk_f32 v38, v45, 0x3dbcf732, v73
	v_dual_add_f32 v51, v14, v28 :: v_dual_sub_f32 v152, v25, v19
	s_delay_alu instid0(VALU_DEP_3) | instskip(NEXT) | instid1(VALU_DEP_3)
	v_dual_mul_f32 v133, 0x3f763a35, v170 :: v_dual_sub_f32 v142, v31, v13
	v_add_f32_e32 v2, v38, v2
	v_fma_f32 v38, 0x3ee437d1, v49, -v67
	v_mul_f32_e32 v64, 0xbf65296c, v96
	v_dual_sub_f32 v122, v29, v15 :: v_dual_add_f32 v53, v12, v30
	s_delay_alu instid0(VALU_DEP_3) | instskip(SKIP_4) | instid1(VALU_DEP_4)
	v_dual_mul_f32 v70, 0xbf7ee86f, v139 :: v_dual_add_f32 v1, v38, v1
	v_dual_fmamk_f32 v38, v48, 0xbf1a4643, v77 :: v_dual_add_f32 v55, v18, v24
	v_mul_f32_e32 v71, 0xbf4c4adb, v152
	v_mul_f32_e32 v68, 0xbf763a35, v142
	v_add_f32_e32 v52, v15, v29
	v_add_f32_e32 v2, v38, v2
	v_mul_f32_e32 v81, 0xbe3c28d5, v122
	v_mul_f32_e32 v86, 0x3f06c442, v142
	v_fmamk_f32 v41, v53, 0xbe8c1d8e, v68
	v_fma_f32 v38, 0x3dbcf732, v52, -v70
	v_mul_f32_e32 v84, 0xbf4c4adb, v116
	v_sub_f32_e32 v150, v30, v12
	v_sub_f32_e32 v178, v20, v22
	;; [unrolled: 1-line block ×3, first 2 shown]
	v_add_f32_e32 v1, v38, v1
	v_fma_f32 v39, 0xbf1a4643, v49, -v84
	v_fmamk_f32 v40, v48, 0x3ee437d1, v64
	v_dual_sub_f32 v174, v26, v16 :: v_dual_mul_f32 v143, 0x3eb8f4ab, v178
	v_add_f32_e32 v56, v19, v25
	s_delay_alu instid0(VALU_DEP_3) | instskip(SKIP_3) | instid1(VALU_DEP_3)
	v_dual_add_f32 v3, v39, v3 :: v_dual_add_f32 v0, v40, v0
	v_fmamk_f32 v39, v51, 0xbf7ba420, v81
	v_dual_sub_f32 v175, v21, v23 :: v_dual_mul_f32 v66, 0xbf7ee86f, v122
	v_dual_add_f32 v54, v13, v31 :: v_dual_mul_f32 v141, 0x3f65296c, v174
	v_dual_add_f32 v2, v39, v2 :: v_dual_fmamk_f32 v39, v53, 0xbf59a7d5, v86
	v_mul_f32_e32 v108, 0x3f06c442, v150
	s_delay_alu instid0(VALU_DEP_4)
	v_mul_f32_e32 v127, 0x3eb8f4ab, v175
	v_mul_f32_e32 v99, 0x3f65296c, v160
	;; [unrolled: 1-line block ×3, first 2 shown]
	v_dual_add_f32 v2, v39, v2 :: v_dual_add_f32 v59, v22, v20
	v_fma_f32 v39, 0xbe8c1d8e, v56, -v133
	v_mul_f32_e32 v72, 0xbf763a35, v150
	v_dual_add_f32 v58, v17, v27 :: v_dual_mul_f32 v79, 0xbf06c442, v174
	v_dual_add_f32 v60, v23, v21 :: v_dual_mul_f32 v85, 0xbe3c28d5, v178
	s_delay_alu instid0(VALU_DEP_3) | instskip(SKIP_3) | instid1(VALU_DEP_2)
	v_fma_f32 v38, 0xbe8c1d8e, v54, -v72
	v_fmamk_f32 v40, v51, 0x3dbcf732, v66
	v_mul_f32_e32 v78, 0xbe3c28d5, v175
	s_barrier
	v_dual_add_f32 v1, v38, v1 :: v_dual_add_f32 v0, v40, v0
	v_fma_f32 v40, 0xbf7ba420, v52, -v90
	v_fma_f32 v38, 0xbf1a4643, v56, -v75
	buffer_gl0_inv
	v_dual_add_f32 v0, v41, v0 :: v_dual_add_f32 v3, v40, v3
	v_fmamk_f32 v41, v55, 0xbf1a4643, v71
	v_fma_f32 v40, 0xbf59a7d5, v54, -v108
	s_delay_alu instid0(VALU_DEP_2) | instskip(NEXT) | instid1(VALU_DEP_2)
	v_dual_add_f32 v1, v38, v1 :: v_dual_add_f32 v0, v41, v0
	v_add_f32_e32 v3, v40, v3
	v_fmamk_f32 v41, v57, 0x3ee437d1, v99
	s_delay_alu instid0(VALU_DEP_2) | instskip(NEXT) | instid1(VALU_DEP_1)
	v_dual_add_f32 v3, v39, v3 :: v_dual_mul_f32 v88, 0x3f763a35, v152
	v_fmamk_f32 v38, v55, 0xbe8c1d8e, v88
	s_delay_alu instid0(VALU_DEP_1) | instskip(SKIP_1) | instid1(VALU_DEP_1)
	v_add_f32_e32 v2, v38, v2
	v_fma_f32 v38, 0xbf59a7d5, v58, -v79
	v_dual_add_f32 v1, v38, v1 :: v_dual_add_f32 v38, v41, v2
	v_fma_f32 v2, 0x3ee437d1, v58, -v141
	v_fma_f32 v41, 0x3f6eb680, v60, -v143
	s_delay_alu instid0(VALU_DEP_2) | instskip(SKIP_3) | instid1(VALU_DEP_2)
	v_add_f32_e32 v39, v2, v3
	v_fma_f32 v3, 0xbf7ba420, v60, -v85
	v_mul_f32_e32 v74, 0xbf06c442, v160
	v_fmamk_f32 v2, v59, 0xbf7ba420, v78
	v_dual_add_f32 v3, v3, v1 :: v_dual_fmamk_f32 v40, v57, 0xbf59a7d5, v74
	s_delay_alu instid0(VALU_DEP_1) | instskip(SKIP_1) | instid1(VALU_DEP_2)
	v_dual_add_f32 v1, v41, v39 :: v_dual_add_f32 v0, v40, v0
	v_fmamk_f32 v40, v59, 0x3f6eb680, v127
	v_add_f32_e32 v2, v2, v0
	s_delay_alu instid0(VALU_DEP_2)
	v_add_f32_e32 v0, v40, v38
	s_and_saveexec_b32 s0, vcc_lo
	s_cbranch_execz .LBB0_7
; %bb.6:
	v_dual_mul_f32 v125, 0xbe3c28d5, v93 :: v_dual_mul_f32 v114, 0xbe3c28d5, v82
	v_mul_f32_e32 v112, 0x3eb8f4ab, v83
	v_dual_mul_f32 v110, 0xbf06c442, v96 :: v_dual_mul_f32 v131, 0xbf06c442, v93
	v_mul_f32_e32 v111, 0x3f2c7751, v122
	s_delay_alu instid0(VALU_DEP_4)
	v_fma_f32 v41, 0xbf7ba420, v44, -v114
	v_mul_f32_e32 v94, 0xbf4c4adb, v150
	v_fma_f32 v42, 0x3f6eb680, v45, -v112
	v_fma_f32 v43, 0xbf59a7d5, v48, -v110
	v_mul_f32_e32 v91, 0x3f65296c, v152
	v_dual_add_f32 v41, v41, v4 :: v_dual_mul_f32 v92, 0x3f65296c, v170
	v_dual_mul_f32 v89, 0xbf763a35, v174 :: v_dual_mul_f32 v98, 0xbf763a35, v160
	v_dual_mul_f32 v132, 0x3f65296c, v106 :: v_dual_mul_f32 v137, 0x3f65296c, v83
	s_delay_alu instid0(VALU_DEP_3) | instskip(SKIP_3) | instid1(VALU_DEP_4)
	v_add_f32_e32 v41, v42, v41
	v_fmamk_f32 v38, v46, 0xbf7ba420, v125
	v_fma_f32 v42, 0x3f3d2fb0, v51, -v111
	v_mul_f32_e32 v136, 0xbf06c442, v82
	v_dual_mul_f32 v124, 0xbf7ee86f, v96 :: v_dual_add_f32 v41, v43, v41
	s_delay_alu instid0(VALU_DEP_4) | instskip(SKIP_2) | instid1(VALU_DEP_4)
	v_dual_mul_f32 v119, 0x3eb8f4ab, v106 :: v_dual_add_f32 v38, v38, v5
	v_mul_f32_e32 v126, 0x3f4c4adb, v122
	v_dual_mul_f32 v128, 0xbeb8f4ab, v142 :: v_dual_mul_f32 v149, 0xbeb8f4ab, v116
	v_add_f32_e32 v41, v42, v41
	v_fma_f32 v42, 0x3ee437d1, v55, -v91
	v_mul_f32_e32 v102, 0xbf4c4adb, v142
	v_fmamk_f32 v39, v47, 0x3f6eb680, v119
	v_mul_f32_e32 v113, 0xbf06c442, v116
	v_dual_mul_f32 v120, 0xbe3c28d5, v170 :: v_dual_mul_f32 v109, 0xbe3c28d5, v152
	s_delay_alu instid0(VALU_DEP_4) | instskip(NEXT) | instid1(VALU_DEP_4)
	v_fma_f32 v43, 0xbf1a4643, v53, -v102
	v_add_f32_e32 v38, v39, v38
	s_delay_alu instid0(VALU_DEP_4) | instskip(SKIP_1) | instid1(VALU_DEP_4)
	v_fmamk_f32 v40, v49, 0xbf59a7d5, v113
	v_dual_mul_f32 v163, 0x3f06c442, v106 :: v_dual_mul_f32 v172, 0x3f06c442, v83
	v_add_f32_e32 v41, v43, v41
	s_delay_alu instid0(VALU_DEP_3) | instskip(SKIP_2) | instid1(VALU_DEP_4)
	v_dual_mul_f32 v97, 0x3f2c7751, v139 :: v_dual_add_f32 v38, v40, v38
	v_fmamk_f32 v40, v54, 0xbf1a4643, v94
	v_fma_f32 v43, 0x3ee437d1, v45, -v137
	v_add_f32_e32 v41, v42, v41
	s_delay_alu instid0(VALU_DEP_4)
	v_fmamk_f32 v39, v52, 0x3f3d2fb0, v97
	v_fma_f32 v95, 0xbf7ba420, v55, -v109
	v_fmamk_f32 v129, v49, 0x3f6eb680, v149
	v_fmamk_f32 v42, v47, 0x3ee437d1, v132
	;; [unrolled: 1-line block ×3, first 2 shown]
	v_dual_add_f32 v38, v39, v38 :: v_dual_fmamk_f32 v39, v56, 0x3ee437d1, v92
	v_mul_f32_e32 v148, 0x3f763a35, v106
	v_mul_f32_e32 v161, 0xbf763a35, v93
	v_mul_f32_e32 v145, 0xbf4c4adb, v82
	s_delay_alu instid0(VALU_DEP_4) | instskip(NEXT) | instid1(VALU_DEP_4)
	v_add_f32_e32 v38, v40, v38
	v_dual_fmamk_f32 v40, v58, 0xbe8c1d8e, v89 :: v_dual_fmamk_f32 v107, v47, 0xbe8c1d8e, v148
	s_delay_alu instid0(VALU_DEP_4) | instskip(NEXT) | instid1(VALU_DEP_3)
	v_fmamk_f32 v153, v46, 0xbe8c1d8e, v161
	v_dual_mul_f32 v101, 0x3f7ee86f, v175 :: v_dual_add_f32 v38, v39, v38
	v_mul_f32_e32 v146, 0x3f763a35, v83
	v_fma_f32 v159, 0xbf59a7d5, v45, -v172
	v_mul_f32_e32 v138, 0xbeb8f4ab, v96
	v_mul_f32_e32 v157, 0xbf2c7751, v170
	v_add_f32_e32 v38, v40, v38
	v_fmamk_f32 v40, v46, 0xbf59a7d5, v131
	v_mul_f32_e32 v87, 0x3f7ee86f, v178
	v_mul_f32_e32 v140, 0xbf06c442, v122
	v_dual_mul_f32 v166, 0xbe3c28d5, v150 :: v_dual_add_f32 v7, v7, v5
	s_delay_alu instid0(VALU_DEP_4) | instskip(NEXT) | instid1(VALU_DEP_4)
	v_add_f32_e32 v40, v40, v5
	v_fmamk_f32 v39, v60, 0x3dbcf732, v87
	v_dual_mul_f32 v167, 0x3f7ee86f, v170 :: v_dual_add_f32 v6, v6, v4
	s_delay_alu instid0(VALU_DEP_4) | instskip(NEXT) | instid1(VALU_DEP_3)
	v_dual_mul_f32 v176, 0xbf7ee86f, v93 :: v_dual_add_f32 v7, v33, v7
	v_add_f32_e32 v39, v39, v38
	v_fma_f32 v38, 0xbe8c1d8e, v57, -v98
	v_add_f32_e32 v40, v42, v40
	v_fma_f32 v130, 0xbf59a7d5, v51, -v140
	v_dual_fmamk_f32 v169, v56, 0x3dbcf732, v167 :: v_dual_fmamk_f32 v180, v46, 0x3dbcf732, v176
	s_delay_alu instid0(VALU_DEP_4) | instskip(SKIP_4) | instid1(VALU_DEP_4)
	v_add_f32_e32 v38, v38, v41
	v_fma_f32 v41, 0x3dbcf732, v59, -v101
	v_mul_f32_e32 v144, 0x3f65296c, v178
	v_mul_f32_e32 v165, 0xbf65296c, v139
	v_dual_mul_f32 v177, 0xbe3c28d5, v106 :: v_dual_mul_f32 v188, 0xbe3c28d5, v83
	v_add_f32_e32 v38, v41, v38
	v_fma_f32 v41, 0xbf59a7d5, v44, -v136
	v_dual_mul_f32 v173, 0x3f2c7751, v96 :: v_dual_add_f32 v180, v180, v5
	s_delay_alu instid0(VALU_DEP_4) | instskip(SKIP_1) | instid1(VALU_DEP_4)
	v_fmamk_f32 v182, v47, 0xbf7ba420, v177
	v_dual_mul_f32 v186, 0xbf7ee86f, v82 :: v_dual_add_f32 v193, v35, v7
	v_add_f32_e32 v41, v41, v4
	s_delay_alu instid0(VALU_DEP_4) | instskip(SKIP_2) | instid1(VALU_DEP_4)
	v_fma_f32 v162, 0x3f3d2fb0, v48, -v173
	v_mul_f32_e32 v156, 0x3f7ee86f, v150
	v_mul_f32_e32 v35, 0xbf06c442, v152
	v_dual_fmac_f32 v110, 0xbf59a7d5, v48 :: v_dual_add_f32 v41, v43, v41
	v_fma_f32 v43, 0x3dbcf732, v48, -v124
	v_mul_f32_e32 v121, 0x3f2c7751, v174
	s_delay_alu instid0(VALU_DEP_4)
	v_fma_f32 v195, 0xbf59a7d5, v55, -v35
	v_mul_f32_e32 v184, 0x3f763a35, v96
	v_mul_f32_e32 v123, 0xbf763a35, v178
	v_add_f32_e32 v41, v43, v41
	v_fma_f32 v43, 0xbf1a4643, v51, -v126
	v_mul_f32_e32 v118, 0xbeb8f4ab, v150
	v_fma_f32 v7, 0xbe8c1d8e, v48, -v184
	v_mul_f32_e32 v147, 0xbf4c4adb, v93
	v_add_f32_e32 v153, v153, v5
	v_add_f32_e32 v41, v43, v41
	v_fma_f32 v43, 0x3f6eb680, v53, -v128
	v_add_f32_e32 v180, v182, v180
	s_delay_alu instid0(VALU_DEP_4) | instskip(NEXT) | instid1(VALU_DEP_3)
	v_dual_add_f32 v6, v32, v6 :: v_dual_add_f32 v153, v155, v153
	v_dual_mul_f32 v164, 0xbf06c442, v139 :: v_dual_add_f32 v43, v43, v41
	v_mul_f32_e32 v117, 0xbf7ee86f, v116
	v_fma_f32 v32, 0x3dbcf732, v44, -v186
	v_mul_f32_e32 v185, 0xbf65296c, v150
	v_fmac_f32_e32 v186, 0x3dbcf732, v44
	v_add_f32_e32 v194, v34, v6
	v_fmamk_f32 v42, v49, 0x3dbcf732, v117
	v_dual_mul_f32 v135, 0x3f4c4adb, v139 :: v_dual_add_f32 v32, v32, v4
	s_delay_alu instid0(VALU_DEP_3) | instskip(NEXT) | instid1(VALU_DEP_3)
	v_dual_mul_f32 v187, 0xbf4c4adb, v175 :: v_dual_add_f32 v28, v28, v194
	v_add_f32_e32 v40, v42, v40
	s_delay_alu instid0(VALU_DEP_3) | instskip(NEXT) | instid1(VALU_DEP_3)
	v_dual_fmamk_f32 v42, v52, 0xbf1a4643, v135 :: v_dual_add_f32 v29, v29, v193
	v_fma_f32 v192, 0xbf1a4643, v59, -v187
	v_fmac_f32_e32 v111, 0x3f3d2fb0, v51
	s_delay_alu instid0(VALU_DEP_3) | instskip(NEXT) | instid1(VALU_DEP_4)
	v_dual_fmac_f32 v91, 0x3ee437d1, v55 :: v_dual_add_f32 v40, v42, v40
	v_dual_fmamk_f32 v42, v54, 0x3f6eb680, v118 :: v_dual_add_f32 v29, v31, v29
	v_fmac_f32_e32 v137, 0x3ee437d1, v45
	v_fmac_f32_e32 v101, 0x3dbcf732, v59
	s_delay_alu instid0(VALU_DEP_3) | instskip(NEXT) | instid1(VALU_DEP_4)
	v_dual_fmac_f32 v109, 0xbf7ba420, v55 :: v_dual_add_f32 v40, v42, v40
	v_dual_fmamk_f32 v42, v56, 0xbf7ba420, v120 :: v_dual_add_f32 v25, v25, v29
	v_fmac_f32_e32 v173, 0x3f3d2fb0, v48
	s_delay_alu instid0(VALU_DEP_2) | instskip(NEXT) | instid1(VALU_DEP_3)
	v_dual_fmac_f32 v187, 0xbf1a4643, v59 :: v_dual_add_f32 v40, v42, v40
	v_dual_fmamk_f32 v42, v58, 0x3f3d2fb0, v121 :: v_dual_add_f32 v25, v27, v25
	s_delay_alu instid0(VALU_DEP_1) | instskip(NEXT) | instid1(VALU_DEP_2)
	v_add_f32_e32 v40, v42, v40
	v_dual_fmamk_f32 v42, v60, 0xbe8c1d8e, v123 :: v_dual_add_f32 v21, v21, v25
	s_delay_alu instid0(VALU_DEP_1) | instskip(SKIP_4) | instid1(VALU_DEP_4)
	v_add_f32_e32 v41, v42, v40
	v_fmamk_f32 v40, v46, 0xbf1a4643, v147
	v_dual_mul_f32 v115, 0x3f2c7751, v160 :: v_dual_add_f32 v42, v95, v43
	v_mul_f32_e32 v95, 0xbf763a35, v175
	v_add_f32_e32 v21, v23, v21
	v_add_f32_e32 v40, v40, v5
	s_delay_alu instid0(VALU_DEP_4) | instskip(SKIP_1) | instid1(VALU_DEP_4)
	v_fma_f32 v43, 0x3f3d2fb0, v57, -v115
	v_fmac_f32_e32 v115, 0x3f3d2fb0, v57
	v_add_f32_e32 v17, v17, v21
	s_delay_alu instid0(VALU_DEP_4) | instskip(NEXT) | instid1(VALU_DEP_4)
	v_add_f32_e32 v107, v107, v40
	v_add_f32_e32 v42, v43, v42
	v_fma_f32 v43, 0xbe8c1d8e, v59, -v95
	s_delay_alu instid0(VALU_DEP_4) | instskip(NEXT) | instid1(VALU_DEP_2)
	v_dual_add_f32 v28, v30, v28 :: v_dual_add_f32 v17, v19, v17
	v_dual_fmac_f32 v95, 0xbe8c1d8e, v59 :: v_dual_add_f32 v40, v43, v42
	v_fma_f32 v42, 0xbf1a4643, v44, -v145
	v_add_f32_e32 v43, v129, v107
	v_fma_f32 v129, 0xbe8c1d8e, v45, -v146
	v_dual_add_f32 v24, v24, v28 :: v_dual_add_f32 v13, v13, v17
	s_delay_alu instid0(VALU_DEP_4) | instskip(NEXT) | instid1(VALU_DEP_2)
	v_add_f32_e32 v42, v42, v4
	v_dual_add_f32 v24, v26, v24 :: v_dual_add_f32 v13, v15, v13
	s_delay_alu instid0(VALU_DEP_2) | instskip(SKIP_1) | instid1(VALU_DEP_3)
	v_add_f32_e32 v42, v129, v42
	v_fma_f32 v129, 0x3f6eb680, v48, -v138
	v_add_f32_e32 v23, v20, v24
	s_delay_alu instid0(VALU_DEP_4) | instskip(NEXT) | instid1(VALU_DEP_3)
	v_add_f32_e32 v9, v9, v13
	v_add_f32_e32 v42, v129, v42
	v_mul_f32_e32 v129, 0x3f7ee86f, v142
	s_delay_alu instid0(VALU_DEP_4) | instskip(SKIP_1) | instid1(VALU_DEP_4)
	v_add_f32_e32 v21, v22, v23
	v_fma_f32 v22, 0xbf7ba420, v46, -v125
	v_dual_add_f32 v9, v11, v9 :: v_dual_add_f32 v42, v130, v42
	s_delay_alu instid0(VALU_DEP_4) | instskip(NEXT) | instid1(VALU_DEP_3)
	v_fma_f32 v134, 0x3dbcf732, v53, -v129
	v_dual_mul_f32 v130, 0xbf2c7751, v152 :: v_dual_add_f32 v19, v22, v5
	v_add_f32_e32 v16, v16, v21
	v_fma_f32 v21, 0x3f6eb680, v47, -v119
	s_delay_alu instid0(VALU_DEP_4) | instskip(NEXT) | instid1(VALU_DEP_4)
	v_add_f32_e32 v42, v134, v42
	v_fma_f32 v151, 0x3f3d2fb0, v55, -v130
	v_dual_mul_f32 v134, 0xbe3c28d5, v160 :: v_dual_add_f32 v9, v37, v9
	s_delay_alu instid0(VALU_DEP_4) | instskip(NEXT) | instid1(VALU_DEP_3)
	v_dual_add_f32 v17, v21, v19 :: v_dual_add_f32 v16, v18, v16
	v_dual_add_f32 v42, v151, v42 :: v_dual_mul_f32 v151, 0x3f2c7751, v116
	v_fma_f32 v18, 0xbf59a7d5, v49, -v113
	v_fmac_f32_e32 v114, 0xbf7ba420, v44
	s_delay_alu instid0(VALU_DEP_4) | instskip(SKIP_4) | instid1(VALU_DEP_3)
	v_add_f32_e32 v12, v12, v16
	v_fma_f32 v16, 0x3f3d2fb0, v52, -v97
	v_fmamk_f32 v155, v49, 0x3f3d2fb0, v151
	v_add_f32_e32 v15, v18, v17
	v_dual_add_f32 v17, v114, v4 :: v_dual_fmac_f32 v112, 0x3f6eb680, v45
	v_dual_add_f32 v12, v14, v12 :: v_dual_add_f32 v153, v155, v153
	v_fmamk_f32 v155, v52, 0x3ee437d1, v165
	v_fmamk_f32 v107, v52, 0xbf59a7d5, v164
	v_fma_f32 v14, 0xbf1a4643, v54, -v94
	v_add_f32_e32 v13, v16, v15
	v_add_f32_e32 v15, v112, v17
	;; [unrolled: 1-line block ×3, first 2 shown]
	v_fmamk_f32 v155, v54, 0xbf7ba420, v166
	v_add_f32_e32 v43, v107, v43
	v_dual_fmamk_f32 v107, v54, 0x3dbcf732, v156 :: v_dual_add_f32 v8, v8, v12
	v_add_f32_e32 v11, v14, v13
	s_delay_alu instid0(VALU_DEP_4) | instskip(NEXT) | instid1(VALU_DEP_3)
	v_dual_add_f32 v168, v155, v153 :: v_dual_mul_f32 v153, 0xbeb8f4ab, v174
	v_add_f32_e32 v43, v107, v43
	v_fmamk_f32 v107, v56, 0x3f3d2fb0, v157
	s_delay_alu instid0(VALU_DEP_3) | instskip(SKIP_2) | instid1(VALU_DEP_4)
	v_dual_mul_f32 v155, 0xbe3c28d5, v142 :: v_dual_add_f32 v168, v169, v168
	v_mul_f32_e32 v169, 0x3f7ee86f, v152
	v_fma_f32 v154, 0xbf7ba420, v57, -v134
	v_add_f32_e32 v43, v107, v43
	v_fmamk_f32 v179, v58, 0x3f6eb680, v153
	v_mul_f32_e32 v171, 0xbf763a35, v82
	v_fma_f32 v181, 0x3dbcf732, v55, -v169
	v_mul_f32_e32 v158, 0xbe3c28d5, v174
	v_add_f32_e32 v42, v154, v42
	v_add_f32_e32 v190, v179, v168
	v_mul_f32_e32 v179, 0x3f763a35, v116
	v_fma_f32 v12, 0x3ee437d1, v56, -v92
	v_fmamk_f32 v107, v58, 0xbf7ba420, v158
	v_add_f32_e32 v13, v110, v15
	v_fma_f32 v15, 0xbf1a4643, v46, -v147
	v_add_f32_e32 v8, v10, v8
	v_add_f32_e32 v10, v12, v11
	;; [unrolled: 1-line block ×3, first 2 shown]
	v_fmamk_f32 v107, v60, 0x3ee437d1, v144
	v_fma_f32 v11, 0xbe8c1d8e, v58, -v89
	v_add_f32_e32 v12, v111, v13
	v_fma_f32 v13, 0xbf59a7d5, v46, -v131
	v_dual_fmac_f32 v136, 0xbf59a7d5, v44 :: v_dual_add_f32 v15, v15, v5
	v_add_f32_e32 v43, v107, v43
	v_mul_f32_e32 v107, 0x3f65296c, v175
	v_fma_f32 v16, 0xbe8c1d8e, v47, -v148
	v_dual_add_f32 v13, v13, v5 :: v_dual_add_f32 v10, v11, v10
	v_fma_f32 v11, 0x3dbcf732, v60, -v87
	s_delay_alu instid0(VALU_DEP_4) | instskip(NEXT) | instid1(VALU_DEP_4)
	v_fma_f32 v154, 0x3ee437d1, v59, -v107
	v_dual_add_f32 v15, v16, v15 :: v_dual_fmac_f32 v102, 0xbf1a4643, v53
	v_fma_f32 v14, 0x3ee437d1, v47, -v132
	s_delay_alu instid0(VALU_DEP_4) | instskip(NEXT) | instid1(VALU_DEP_4)
	v_add_f32_e32 v11, v11, v10
	v_add_f32_e32 v42, v154, v42
	v_fma_f32 v154, 0xbe8c1d8e, v44, -v171
	v_add_f32_e32 v12, v102, v12
	v_fma_f32 v16, 0x3f6eb680, v49, -v149
	v_dual_fmac_f32 v146, 0xbe8c1d8e, v45 :: v_dual_fmac_f32 v171, 0xbe8c1d8e, v44
	s_delay_alu instid0(VALU_DEP_4) | instskip(NEXT) | instid1(VALU_DEP_3)
	v_add_f32_e32 v154, v154, v4
	v_dual_add_f32 v10, v91, v12 :: v_dual_add_f32 v15, v16, v15
	v_dual_add_f32 v12, v14, v13 :: v_dual_fmac_f32 v145, 0xbf1a4643, v44
	s_delay_alu instid0(VALU_DEP_3) | instskip(SKIP_3) | instid1(VALU_DEP_4)
	v_add_f32_e32 v159, v159, v154
	v_mul_f32_e32 v154, 0xbf65296c, v122
	v_fma_f32 v13, 0x3dbcf732, v49, -v117
	v_dual_fmac_f32 v128, 0x3f6eb680, v53 :: v_dual_add_f32 v21, v171, v4
	v_add_f32_e32 v159, v162, v159
	s_delay_alu instid0(VALU_DEP_4) | instskip(NEXT) | instid1(VALU_DEP_4)
	v_fma_f32 v162, 0x3ee437d1, v51, -v154
	v_add_f32_e32 v12, v13, v12
	v_fma_f32 v13, 0xbf1a4643, v52, -v135
	v_fma_f32 v16, 0xbf59a7d5, v52, -v164
	s_delay_alu instid0(VALU_DEP_4) | instskip(SKIP_1) | instid1(VALU_DEP_3)
	v_dual_add_f32 v8, v36, v8 :: v_dual_add_f32 v159, v162, v159
	v_fma_f32 v162, 0xbf7ba420, v53, -v155
	v_dual_fmac_f32 v98, 0xbe8c1d8e, v57 :: v_dual_add_f32 v15, v16, v15
	v_add_f32_e32 v14, v136, v4
	v_fma_f32 v16, 0x3dbcf732, v54, -v156
	s_delay_alu instid0(VALU_DEP_4)
	v_add_f32_e32 v168, v162, v159
	v_mul_f32_e32 v162, 0xbf4c4adb, v178
	v_fma_f32 v18, 0xbe8c1d8e, v46, -v161
	v_fmac_f32_e32 v124, 0x3dbcf732, v48
	v_fmac_f32_e32 v107, 0x3ee437d1, v59
	v_add_f32_e32 v181, v181, v168
	v_fmamk_f32 v182, v49, 0xbe8c1d8e, v179
	v_dual_add_f32 v10, v98, v10 :: v_dual_add_f32 v17, v145, v4
	v_fmac_f32_e32 v155, 0xbf7ba420, v53
	v_fmac_f32_e32 v138, 0x3f6eb680, v48
	s_delay_alu instid0(VALU_DEP_4) | instskip(SKIP_4) | instid1(VALU_DEP_4)
	v_add_f32_e32 v180, v182, v180
	v_mul_f32_e32 v168, 0x3eb8f4ab, v139
	v_dual_fmac_f32 v169, 0x3dbcf732, v55 :: v_dual_add_f32 v10, v101, v10
	v_fmac_f32_e32 v129, 0x3dbcf732, v53
	v_fmac_f32_e32 v130, 0x3f3d2fb0, v55
	v_fmamk_f32 v182, v52, 0x3f6eb680, v168
	s_delay_alu instid0(VALU_DEP_1) | instskip(SKIP_3) | instid1(VALU_DEP_3)
	v_add_f32_e32 v33, v182, v180
	v_fma_f32 v182, 0xbf7ba420, v45, -v188
	v_mul_f32_e32 v189, 0xbf06c442, v170
	v_fmac_f32_e32 v188, 0xbf7ba420, v45
	v_add_f32_e32 v6, v182, v32
	v_mul_f32_e32 v182, 0x3eb8f4ab, v122
	s_delay_alu instid0(VALU_DEP_4) | instskip(NEXT) | instid1(VALU_DEP_3)
	v_fmamk_f32 v34, v56, 0xbf59a7d5, v189
	v_add_f32_e32 v6, v7, v6
	s_delay_alu instid0(VALU_DEP_3) | instskip(NEXT) | instid1(VALU_DEP_1)
	v_fma_f32 v7, 0x3f6eb680, v51, -v182
	v_dual_mul_f32 v159, 0xbeb8f4ab, v160 :: v_dual_add_f32 v6, v7, v6
	s_delay_alu instid0(VALU_DEP_1) | instskip(SKIP_1) | instid1(VALU_DEP_2)
	v_fma_f32 v183, 0x3f6eb680, v57, -v159
	v_fmac_f32_e32 v159, 0x3f6eb680, v57
	v_add_f32_e32 v191, v183, v181
	v_mul_f32_e32 v183, 0x3f4c4adb, v174
	v_fmamk_f32 v32, v60, 0xbf1a4643, v162
	s_delay_alu instid0(VALU_DEP_1) | instskip(NEXT) | instid1(VALU_DEP_1)
	v_dual_fmamk_f32 v180, v54, 0x3ee437d1, v185 :: v_dual_add_f32 v7, v32, v190
	v_add_f32_e32 v33, v180, v33
	v_dual_mul_f32 v181, 0xbf65296c, v142 :: v_dual_mul_f32 v190, 0xbf65296c, v93
	v_mul_f32_e32 v93, 0xbf4c4adb, v106
	v_mul_f32_e32 v106, 0x3e3c28d5, v116
	s_delay_alu instid0(VALU_DEP_4) | instskip(NEXT) | instid1(VALU_DEP_4)
	v_add_f32_e32 v32, v34, v33
	v_fma_f32 v180, 0x3ee437d1, v53, -v181
	v_mul_f32_e32 v34, 0x3f4c4adb, v160
	v_fmamk_f32 v33, v58, 0xbf1a4643, v183
	v_mul_f32_e32 v116, 0x3f763a35, v139
	s_delay_alu instid0(VALU_DEP_4) | instskip(SKIP_1) | instid1(VALU_DEP_4)
	v_dual_mul_f32 v139, 0x3e3c28d5, v96 :: v_dual_add_f32 v6, v180, v6
	v_mul_f32_e32 v96, 0x3f2c7751, v150
	v_add_f32_e32 v32, v33, v32
	v_mul_f32_e32 v180, 0x3f2c7751, v178
	v_mul_f32_e32 v150, 0x3f763a35, v122
	v_add_f32_e32 v33, v195, v6
	v_fma_f32 v195, 0xbf1a4643, v57, -v34
	v_add_f32_e32 v6, v192, v191
	v_fmamk_f32 v196, v60, 0x3f3d2fb0, v180
	v_mul_f32_e32 v191, 0xbf65296c, v82
	s_delay_alu instid0(VALU_DEP_4) | instskip(NEXT) | instid1(VALU_DEP_3)
	v_dual_fmamk_f32 v192, v46, 0x3ee437d1, v190 :: v_dual_add_f32 v195, v195, v33
	v_dual_mul_f32 v122, 0xbeb8f4ab, v170 :: v_dual_add_f32 v33, v196, v32
	v_fmamk_f32 v196, v47, 0xbf1a4643, v93
	s_delay_alu instid0(VALU_DEP_3)
	v_add_f32_e32 v32, v192, v5
	v_fma_f32 v197, 0x3ee437d1, v44, -v191
	v_mul_f32_e32 v192, 0xbf4c4adb, v83
	v_fmamk_f32 v83, v49, 0xbf7ba420, v106
	v_mul_f32_e32 v142, 0x3f2c7751, v142
	v_add_f32_e32 v32, v196, v32
	v_add_f32_e32 v196, v197, v4
	v_fma_f32 v197, 0xbf1a4643, v45, -v192
	v_dual_fmac_f32 v172, 0xbf59a7d5, v45 :: v_dual_fmac_f32 v35, 0xbf59a7d5, v55
	s_delay_alu instid0(VALU_DEP_4) | instskip(NEXT) | instid1(VALU_DEP_3)
	v_dual_add_f32 v32, v83, v32 :: v_dual_fmamk_f32 v83, v52, 0xbe8c1d8e, v116
	v_add_f32_e32 v196, v197, v196
	v_fma_f32 v197, 0xbf7ba420, v48, -v139
	s_delay_alu instid0(VALU_DEP_4) | instskip(SKIP_2) | instid1(VALU_DEP_4)
	v_dual_add_f32 v12, v13, v12 :: v_dual_add_f32 v21, v172, v21
	v_fma_f32 v13, 0x3f6eb680, v54, -v118
	v_dual_fmac_f32 v134, 0xbf7ba420, v57 :: v_dual_fmac_f32 v139, 0xbf7ba420, v48
	v_dual_add_f32 v170, v197, v196 :: v_dual_fmamk_f32 v197, v56, 0x3f6eb680, v122
	v_dual_add_f32 v32, v83, v32 :: v_dual_fmamk_f32 v83, v54, 0x3f3d2fb0, v96
	v_fma_f32 v196, 0xbe8c1d8e, v51, -v150
	v_add_f32_e32 v12, v13, v12
	v_fma_f32 v13, 0xbf7ba420, v56, -v120
	v_fmac_f32_e32 v184, 0xbe8c1d8e, v48
	v_add_f32_e32 v32, v83, v32
	v_add_f32_e32 v170, v196, v170
	v_fma_f32 v196, 0x3f3d2fb0, v53, -v142
	v_mul_f32_e32 v83, 0xbeb8f4ab, v152
	s_delay_alu instid0(VALU_DEP_4) | instskip(SKIP_1) | instid1(VALU_DEP_4)
	v_dual_mul_f32 v152, 0xbf7ee86f, v174 :: v_dual_add_f32 v197, v197, v32
	v_mul_f32_e32 v32, 0x3f3d2fb0, v46
	v_add_f32_e32 v170, v196, v170
	s_delay_alu instid0(VALU_DEP_4)
	v_fma_f32 v174, 0x3f6eb680, v55, -v83
	v_mul_f32_e32 v196, 0x3dbcf732, v47
	v_fmac_f32_e32 v182, 0x3f6eb680, v51
	v_add_f32_e32 v32, v76, v32
	v_mul_f32_e32 v76, 0xbf7ee86f, v160
	v_add_f32_e32 v160, v174, v170
	v_add_f32_e32 v80, v80, v196
	v_mul_f32_e32 v174, 0xbf1a4643, v49
	v_add_f32_e32 v170, v32, v5
	v_fma_f32 v196, 0x3dbcf732, v57, -v76
	v_fmac_f32_e32 v34, 0xbf1a4643, v57
	s_delay_alu instid0(VALU_DEP_4) | instskip(NEXT) | instid1(VALU_DEP_4)
	v_dual_fmac_f32 v181, 0x3ee437d1, v53 :: v_dual_add_f32 v84, v84, v174
	v_add_f32_e32 v80, v80, v170
	v_mul_f32_e32 v170, 0xbf7ba420, v52
	v_add_f32_e32 v160, v196, v160
	v_mul_f32_e32 v196, 0xbf06c442, v175
	v_fmac_f32_e32 v191, 0x3ee437d1, v44
	v_add_f32_e32 v80, v84, v80
	v_mul_f32_e32 v84, 0x3f3d2fb0, v44
	v_add_f32_e32 v90, v90, v170
	v_mul_f32_e32 v170, 0xbf59a7d5, v54
	v_fmac_f32_e32 v83, 0x3f6eb680, v55
	s_delay_alu instid0(VALU_DEP_3) | instskip(NEXT) | instid1(VALU_DEP_3)
	v_dual_sub_f32 v69, v84, v69 :: v_dual_add_f32 v80, v90, v80
	v_add_f32_e32 v84, v108, v170
	v_mul_f32_e32 v90, 0xbe8c1d8e, v56
	v_mul_f32_e32 v108, 0xbf1a4643, v48
	s_delay_alu instid0(VALU_DEP_4) | instskip(NEXT) | instid1(VALU_DEP_4)
	v_dual_add_f32 v69, v69, v4 :: v_dual_mul_f32 v82, 0x3f2c7751, v175
	v_dual_mul_f32 v175, 0x3dbcf732, v45 :: v_dual_add_f32 v80, v84, v80
	s_delay_alu instid0(VALU_DEP_3) | instskip(NEXT) | instid1(VALU_DEP_2)
	v_dual_add_f32 v84, v133, v90 :: v_dual_sub_f32 v77, v108, v77
	v_dual_mul_f32 v90, 0xbf7ba420, v51 :: v_dual_sub_f32 v73, v175, v73
	v_fmac_f32_e32 v192, 0xbf1a4643, v45
	s_delay_alu instid0(VALU_DEP_3) | instskip(NEXT) | instid1(VALU_DEP_3)
	v_add_f32_e32 v80, v84, v80
	v_dual_mul_f32 v84, 0xbe8c1d8e, v55 :: v_dual_add_f32 v69, v73, v69
	v_mul_f32_e32 v73, 0x3ee437d1, v58
	v_fma_f32 v198, 0x3f3d2fb0, v59, -v82
	s_delay_alu instid0(VALU_DEP_3) | instskip(SKIP_3) | instid1(VALU_DEP_3)
	v_dual_fmac_f32 v82, 0x3f3d2fb0, v59 :: v_dual_add_f32 v69, v77, v69
	v_sub_f32_e32 v77, v90, v81
	v_mul_f32_e32 v81, 0xbf59a7d5, v53
	v_dual_add_f32 v73, v141, v73 :: v_dual_mul_f32 v90, 0xbe8c1d8e, v54
	v_dual_fmac_f32 v150, 0xbe8c1d8e, v51 :: v_dual_add_f32 v69, v77, v69
	s_delay_alu instid0(VALU_DEP_3) | instskip(NEXT) | instid1(VALU_DEP_3)
	v_sub_f32_e32 v77, v81, v86
	v_add_f32_e32 v73, v73, v80
	v_dual_mul_f32 v80, 0x3f6eb680, v60 :: v_dual_mul_f32 v81, 0x3f6eb680, v46
	v_fmac_f32_e32 v142, 0x3f3d2fb0, v53
	s_delay_alu instid0(VALU_DEP_4) | instskip(SKIP_1) | instid1(VALU_DEP_4)
	v_add_f32_e32 v69, v77, v69
	v_dual_sub_f32 v77, v84, v88 :: v_dual_mul_f32 v88, 0x3dbcf732, v51
	v_add_f32_e32 v63, v63, v81
	v_dual_mul_f32 v81, 0x3ee437d1, v57 :: v_dual_add_f32 v32, v198, v195
	s_delay_alu instid0(VALU_DEP_3) | instskip(SKIP_1) | instid1(VALU_DEP_4)
	v_add_f32_e32 v69, v77, v69
	v_mul_f32_e32 v77, 0x3ee437d1, v49
	v_dual_add_f32 v63, v63, v5 :: v_dual_mul_f32 v84, 0x3f6eb680, v44
	s_delay_alu instid0(VALU_DEP_4) | instskip(SKIP_1) | instid1(VALU_DEP_4)
	v_sub_f32_e32 v81, v81, v99
	v_fmamk_f32 v199, v58, 0x3dbcf732, v152
	v_add_f32_e32 v67, v67, v77
	v_mul_f32_e32 v77, 0x3ee437d1, v48
	v_mul_f32_e32 v86, 0x3f3d2fb0, v47
	v_dual_mul_f32 v178, 0xbf06c442, v178 :: v_dual_add_f32 v69, v81, v69
	v_mul_f32_e32 v81, 0x3dbcf732, v52
	v_sub_f32_e32 v61, v84, v61
	s_delay_alu instid0(VALU_DEP_4) | instskip(SKIP_1) | instid1(VALU_DEP_4)
	v_dual_add_f32 v65, v65, v86 :: v_dual_mul_f32 v86, 0x3f3d2fb0, v45
	v_add_f32_e32 v195, v199, v197
	v_add_f32_e32 v81, v70, v81
	v_fma_f32 v108, 0xbf59a7d5, v59, -v196
	s_delay_alu instid0(VALU_DEP_4) | instskip(SKIP_3) | instid1(VALU_DEP_4)
	v_dual_add_f32 v63, v65, v63 :: v_dual_sub_f32 v62, v86, v62
	v_mul_f32_e32 v86, 0xbf7ba420, v60
	v_add_f32_e32 v61, v61, v4
	v_mul_f32_e32 v65, 0x3f6eb680, v59
	v_dual_add_f32 v63, v67, v63 :: v_dual_fmamk_f32 v174, v60, 0xbf59a7d5, v178
	s_delay_alu instid0(VALU_DEP_3) | instskip(SKIP_1) | instid1(VALU_DEP_3)
	v_dual_add_f32 v80, v143, v80 :: v_dual_add_f32 v31, v62, v61
	v_sub_f32_e32 v61, v77, v64
	v_add_f32_e32 v63, v81, v63
	s_delay_alu instid0(VALU_DEP_4) | instskip(SKIP_1) | instid1(VALU_DEP_4)
	v_dual_add_f32 v175, v174, v195 :: v_dual_add_f32 v174, v108, v160
	v_sub_f32_e32 v65, v65, v127
	v_dual_add_f32 v30, v61, v31 :: v_dual_sub_f32 v31, v88, v66
	v_dual_add_f32 v70, v80, v73 :: v_dual_mul_f32 v73, 0xbf1a4643, v56
	s_delay_alu instid0(VALU_DEP_3) | instskip(SKIP_2) | instid1(VALU_DEP_4)
	v_add_f32_e32 v69, v65, v69
	v_dual_mul_f32 v65, 0xbf1a4643, v55 :: v_dual_add_f32 v72, v72, v90
	v_mul_f32_e32 v67, 0xbe8c1d8e, v53
	v_add_f32_e32 v29, v75, v73
	v_dual_mul_f32 v80, 0xbf59a7d5, v57 :: v_dual_mul_f32 v81, 0xbf59a7d5, v58
	s_delay_alu instid0(VALU_DEP_3) | instskip(SKIP_2) | instid1(VALU_DEP_3)
	v_dual_add_f32 v62, v72, v63 :: v_dual_sub_f32 v25, v67, v68
	v_mul_f32_e32 v84, 0xbf7ba420, v59
	v_fmac_f32_e32 v196, 0xbf59a7d5, v59
	v_dual_add_f32 v28, v79, v81 :: v_dual_add_f32 v27, v29, v62
	v_dual_add_f32 v29, v31, v30 :: v_dual_fmac_f32 v76, 0x3dbcf732, v57
	s_delay_alu instid0(VALU_DEP_1) | instskip(SKIP_1) | instid1(VALU_DEP_1)
	v_add_f32_e32 v24, v25, v29
	v_sub_f32_e32 v25, v65, v71
	v_dual_add_f32 v23, v25, v24 :: v_dual_sub_f32 v24, v80, v74
	v_fma_f32 v25, 0xbf59a7d5, v60, -v178
	s_delay_alu instid0(VALU_DEP_2) | instskip(SKIP_3) | instid1(VALU_DEP_2)
	v_add_f32_e32 v22, v24, v23
	v_dual_add_f32 v26, v28, v27 :: v_dual_add_f32 v27, v85, v86
	v_sub_f32_e32 v23, v84, v78
	v_fma_f32 v24, 0x3dbcf732, v58, -v152
	v_add_f32_e32 v19, v23, v22
	s_delay_alu instid0(VALU_DEP_4)
	v_add_f32_e32 v20, v27, v26
	v_fma_f32 v22, 0xbf7ba420, v54, -v166
	v_add_f32_e32 v12, v13, v12
	v_fma_f32 v13, 0x3f3d2fb0, v58, -v121
	v_add_f32_e32 v23, v186, v4
	v_add_f32_e32 v4, v191, v4
	s_delay_alu instid0(VALU_DEP_3) | instskip(SKIP_2) | instid1(VALU_DEP_4)
	v_add_f32_e32 v12, v13, v12
	v_fma_f32 v13, 0xbe8c1d8e, v60, -v123
	v_fmac_f32_e32 v126, 0xbf1a4643, v51
	v_add_f32_e32 v4, v192, v4
	s_delay_alu instid0(VALU_DEP_3)
	v_dual_add_f32 v13, v13, v12 :: v_dual_add_f32 v12, v16, v15
	v_fma_f32 v15, 0x3f3d2fb0, v56, -v157
	v_add_f32_e32 v14, v137, v14
	v_add_f32_e32 v16, v146, v17
	v_fma_f32 v17, 0xbf7ba420, v58, -v158
	v_add_f32_e32 v4, v139, v4
	s_delay_alu instid0(VALU_DEP_4) | instskip(NEXT) | instid1(VALU_DEP_4)
	v_dual_add_f32 v15, v15, v12 :: v_dual_add_f32 v14, v124, v14
	v_add_f32_e32 v16, v138, v16
	s_delay_alu instid0(VALU_DEP_3) | instskip(NEXT) | instid1(VALU_DEP_3)
	v_add_f32_e32 v4, v150, v4
	v_add_f32_e32 v14, v126, v14
	s_delay_alu instid0(VALU_DEP_2) | instskip(NEXT) | instid1(VALU_DEP_2)
	v_add_f32_e32 v4, v142, v4
	v_add_f32_e32 v14, v128, v14
	s_delay_alu instid0(VALU_DEP_2) | instskip(NEXT) | instid1(VALU_DEP_2)
	;; [unrolled: 3-line block ×3, first 2 shown]
	v_add_f32_e32 v26, v76, v4
	v_add_f32_e32 v14, v115, v14
	s_delay_alu instid0(VALU_DEP_1) | instskip(SKIP_3) | instid1(VALU_DEP_2)
	v_add_f32_e32 v12, v95, v14
	v_dual_add_f32 v14, v17, v15 :: v_dual_add_f32 v15, v18, v5
	v_fma_f32 v17, 0xbf59a7d5, v47, -v163
	v_fma_f32 v18, 0x3ee437d1, v60, -v144
	v_add_f32_e32 v15, v17, v15
	v_fma_f32 v17, 0x3f3d2fb0, v49, -v151
	s_delay_alu instid0(VALU_DEP_1) | instskip(SKIP_1) | instid1(VALU_DEP_1)
	v_add_f32_e32 v15, v17, v15
	v_fma_f32 v17, 0x3ee437d1, v52, -v165
	v_add_f32_e32 v17, v17, v15
	v_add_f32_e32 v15, v18, v14
	v_fma_f32 v18, 0x3dbcf732, v56, -v167
	s_delay_alu instid0(VALU_DEP_3) | instskip(SKIP_1) | instid1(VALU_DEP_2)
	v_add_f32_e32 v17, v22, v17
	v_fma_f32 v22, 0xbf7ba420, v47, -v177
	v_add_f32_e32 v17, v18, v17
	v_fma_f32 v18, 0x3f6eb680, v58, -v153
	s_delay_alu instid0(VALU_DEP_1) | instskip(NEXT) | instid1(VALU_DEP_1)
	v_dual_fmac_f32 v140, 0xbf59a7d5, v51 :: v_dual_add_f32 v17, v18, v17
	v_add_f32_e32 v16, v140, v16
	s_delay_alu instid0(VALU_DEP_1) | instskip(NEXT) | instid1(VALU_DEP_1)
	v_add_f32_e32 v16, v129, v16
	v_add_f32_e32 v16, v130, v16
	s_delay_alu instid0(VALU_DEP_1) | instskip(SKIP_2) | instid1(VALU_DEP_1)
	v_add_f32_e32 v14, v134, v16
	v_add_f32_e32 v16, v173, v21
	v_fma_f32 v21, 0x3dbcf732, v46, -v176
	v_add_f32_e32 v21, v21, v5
	s_delay_alu instid0(VALU_DEP_1) | instskip(SKIP_2) | instid1(VALU_DEP_2)
	v_add_f32_e32 v18, v22, v21
	v_fma_f32 v21, 0xbe8c1d8e, v49, -v179
	v_fma_f32 v22, 0xbf1a4643, v60, -v162
	v_add_f32_e32 v18, v21, v18
	v_fma_f32 v21, 0x3f6eb680, v52, -v168
	s_delay_alu instid0(VALU_DEP_3) | instskip(SKIP_1) | instid1(VALU_DEP_3)
	v_dual_add_f32 v17, v22, v17 :: v_dual_add_f32 v22, v188, v23
	v_fma_f32 v23, 0x3ee437d1, v46, -v190
	v_add_f32_e32 v18, v21, v18
	v_fma_f32 v21, 0x3ee437d1, v54, -v185
	s_delay_alu instid0(VALU_DEP_3) | instskip(SKIP_1) | instid1(VALU_DEP_3)
	v_dual_add_f32 v22, v184, v22 :: v_dual_add_f32 v5, v23, v5
	v_fma_f32 v23, 0xbf1a4643, v58, -v183
	v_add_f32_e32 v18, v21, v18
	v_fma_f32 v21, 0xbf59a7d5, v56, -v189
	s_delay_alu instid0(VALU_DEP_4) | instskip(NEXT) | instid1(VALU_DEP_2)
	v_add_f32_e32 v22, v182, v22
	v_add_f32_e32 v18, v21, v18
	v_fma_f32 v21, 0xbf1a4643, v47, -v93
	s_delay_alu instid0(VALU_DEP_3) | instskip(NEXT) | instid1(VALU_DEP_2)
	v_add_f32_e32 v22, v181, v22
	v_dual_add_f32 v18, v23, v18 :: v_dual_add_f32 v5, v21, v5
	v_fma_f32 v21, 0xbf7ba420, v49, -v106
	s_delay_alu instid0(VALU_DEP_3) | instskip(SKIP_1) | instid1(VALU_DEP_3)
	v_add_f32_e32 v22, v35, v22
	v_fma_f32 v23, 0x3f3d2fb0, v60, -v180
	v_add_f32_e32 v5, v21, v5
	v_fma_f32 v21, 0xbe8c1d8e, v52, -v116
	v_fmac_f32_e32 v154, 0x3ee437d1, v51
	s_delay_alu instid0(VALU_DEP_2) | instskip(SKIP_1) | instid1(VALU_DEP_3)
	v_dual_add_f32 v22, v34, v22 :: v_dual_add_f32 v5, v21, v5
	v_fma_f32 v21, 0x3f3d2fb0, v54, -v96
	v_add_f32_e32 v16, v154, v16
	s_delay_alu instid0(VALU_DEP_2) | instskip(SKIP_1) | instid1(VALU_DEP_3)
	v_dual_add_f32 v4, v82, v22 :: v_dual_add_f32 v5, v21, v5
	v_fma_f32 v21, 0x3f6eb680, v56, -v122
	v_add_f32_e32 v16, v155, v16
	s_delay_alu instid0(VALU_DEP_2) | instskip(SKIP_1) | instid1(VALU_DEP_3)
	v_dual_add_f32 v14, v107, v14 :: v_dual_add_f32 v5, v21, v5
	v_mul_lo_u16 v21, v104, 17
	v_add_f32_e32 v16, v169, v16
	s_delay_alu instid0(VALU_DEP_3) | instskip(NEXT) | instid1(VALU_DEP_2)
	v_add_f32_e32 v24, v24, v5
	v_dual_add_f32 v16, v159, v16 :: v_dual_and_b32 v21, 0xffff, v21
	s_delay_alu instid0(VALU_DEP_2) | instskip(NEXT) | instid1(VALU_DEP_2)
	v_dual_add_f32 v5, v23, v18 :: v_dual_add_f32 v22, v25, v24
	v_add_lshl_u32 v27, v50, v21, 3
	s_delay_alu instid0(VALU_DEP_3)
	v_dual_add_f32 v16, v187, v16 :: v_dual_add_f32 v21, v196, v26
	ds_store_2addr_b64 v27, v[8:9], v[19:20] offset1:1
	ds_store_2addr_b64 v27, v[69:70], v[174:175] offset0:2 offset1:3
	ds_store_2addr_b64 v27, v[32:33], v[6:7] offset0:4 offset1:5
	;; [unrolled: 1-line block ×7, first 2 shown]
	ds_store_b64 v27, v[2:3] offset:128
.LBB0_7:
	s_or_b32 exec_lo, exec_lo, s0
	v_and_b32_e32 v4, 0xff, v104
	v_add_co_u32 v51, null, 0xaa, v104
	v_add_co_u32 v5, null, 0xff, v104
	s_delay_alu instid0(VALU_DEP_3) | instskip(NEXT) | instid1(VALU_DEP_3)
	v_mul_lo_u16 v4, 0xf1, v4
	v_and_b32_e32 v54, 0xff, v51
	v_add_co_u32 v52, null, 0x55, v104
	s_delay_alu instid0(VALU_DEP_4) | instskip(NEXT) | instid1(VALU_DEP_4)
	v_and_b32_e32 v8, 0xffff, v5
	v_lshrrev_b16 v61, 12, v4
	s_delay_alu instid0(VALU_DEP_4)
	v_mul_lo_u16 v7, 0xf1, v54
	s_load_b128 s[4:7], s[4:5], 0x0
	s_waitcnt lgkmcnt(0)
	s_barrier
	v_mul_lo_u16 v6, v61, 17
	v_lshrrev_b16 v63, 12, v7
	v_mul_u32_u24_e32 v7, 0xf0f1, v8
	buffer_gl0_inv
	v_add_co_u32 v32, s0, 0xffffffcd, v104
	v_sub_nc_u16 v6, v104, v6
	v_lshrrev_b32_e32 v65, 20, v7
	v_add_lshl_u32 v106, v50, v104, 3
	v_add_co_ci_u32_e64 v33, null, 0, -1, s0
	s_delay_alu instid0(VALU_DEP_4) | instskip(SKIP_1) | instid1(VALU_DEP_2)
	v_and_b32_e32 v64, 0xff, v6
	v_cmp_gt_u16_e64 s0, 51, v104
	v_lshlrev_b32_e32 v7, 4, v64
	s_delay_alu instid0(VALU_DEP_2) | instskip(SKIP_4) | instid1(VALU_DEP_2)
	v_cndmask_b32_e64 v49, v33, 0, s0
	v_cndmask_b32_e64 v48, v32, v104, s0
	global_load_b128 v[16:19], v7, s[2:3]
	v_and_b32_e32 v53, 0xff, v52
	v_lshlrev_b64 v[59:60], 5, v[48:49]
	v_mul_lo_u16 v4, 0xf1, v53
	s_delay_alu instid0(VALU_DEP_2) | instskip(NEXT) | instid1(VALU_DEP_1)
	v_add_co_u32 v59, s0, s2, v59
	v_add_co_ci_u32_e64 v60, s0, s3, v60, s0
	s_delay_alu instid0(VALU_DEP_3) | instskip(SKIP_2) | instid1(VALU_DEP_3)
	v_lshrrev_b16 v62, 12, v4
	v_add_co_u32 v4, null, 0x154, v104
	v_cmp_lt_u16_e64 s0, 50, v104
	v_mul_lo_u16 v9, v62, 17
	s_delay_alu instid0(VALU_DEP_1) | instskip(SKIP_1) | instid1(VALU_DEP_2)
	v_sub_nc_u16 v6, v52, v9
	v_mul_lo_u16 v9, v63, 17
	v_and_b32_e32 v66, 0xff, v6
	s_delay_alu instid0(VALU_DEP_2) | instskip(NEXT) | instid1(VALU_DEP_1)
	v_sub_nc_u16 v6, v51, v9
	v_and_b32_e32 v68, 0xff, v6
	s_delay_alu instid0(VALU_DEP_3) | instskip(SKIP_2) | instid1(VALU_DEP_1)
	v_lshlrev_b32_e32 v6, 4, v66
	global_load_b128 v[20:23], v6, s[2:3]
	v_and_b32_e32 v10, 0xffff, v4
	v_mul_u32_u24_e32 v8, 0xf0f1, v10
	s_delay_alu instid0(VALU_DEP_1) | instskip(SKIP_1) | instid1(VALU_DEP_2)
	v_lshrrev_b32_e32 v67, 20, v8
	v_mul_lo_u16 v8, v65, 17
	v_mul_lo_u16 v7, v67, 17
	s_delay_alu instid0(VALU_DEP_2) | instskip(NEXT) | instid1(VALU_DEP_2)
	v_sub_nc_u16 v69, v5, v8
	v_sub_nc_u16 v70, v4, v7
	v_lshlrev_b32_e32 v4, 4, v68
	s_delay_alu instid0(VALU_DEP_3)
	v_lshlrev_b16 v5, 1, v69
	global_load_b128 v[12:15], v4, s[2:3]
	v_lshlrev_b16 v4, 1, v70
	v_and_b32_e32 v5, 0xffff, v5
	v_add_nc_u32_e32 v77, 0x800, v106
	v_add_nc_u32_e32 v79, 0xc00, v106
	s_delay_alu instid0(VALU_DEP_4) | instskip(NEXT) | instid1(VALU_DEP_4)
	v_and_b32_e32 v4, 0xffff, v4
	v_lshlrev_b32_e32 v5, 3, v5
	s_delay_alu instid0(VALU_DEP_2)
	v_lshlrev_b32_e32 v4, 3, v4
	s_clause 0x1
	global_load_b128 v[8:11], v5, s[2:3]
	global_load_b128 v[4:7], v4, s[2:3]
	v_add_nc_u32_e32 v76, 0x1800, v106
	v_add_nc_u32_e32 v78, 0x1c00, v106
	ds_load_2addr_b64 v[24:27], v106 offset1:85
	ds_load_2addr_b64 v[28:31], v106 offset0:170 offset1:255
	ds_load_b64 v[57:58], v106 offset:9520
	ds_load_2addr_b64 v[32:35], v77 offset0:84 offset1:169
	ds_load_2addr_b64 v[36:39], v76 offset0:82 offset1:167
	;; [unrolled: 1-line block ×4, first 2 shown]
	v_and_b32_e32 v49, 0xffff, v61
	v_and_b32_e32 v62, 0xffff, v62
	v_add_nc_u32_e32 v80, 0x1000, v106
	s_delay_alu instid0(VALU_DEP_3) | instskip(NEXT) | instid1(VALU_DEP_3)
	v_mul_u32_u24_e32 v49, 51, v49
	v_mul_u32_u24_e32 v62, 51, v62
	s_delay_alu instid0(VALU_DEP_2) | instskip(SKIP_2) | instid1(VALU_DEP_3)
	v_add_nc_u32_e32 v49, v49, v64
	v_mad_u16 v64, v65, 51, v69
	v_mad_u16 v65, v67, 51, v70
	v_add_lshl_u32 v115, v50, v49, 3
	s_delay_alu instid0(VALU_DEP_2) | instskip(NEXT) | instid1(VALU_DEP_1)
	v_and_b32_e32 v65, 0xffff, v65
	v_add_lshl_u32 v109, v50, v65, 3
	s_waitcnt vmcnt(4) lgkmcnt(3)
	v_mul_f32_e32 v49, v35, v17
	s_waitcnt vmcnt(2) lgkmcnt(1)
	v_dual_mul_f32 v65, v43, v13 :: v_dual_add_nc_u32 v62, v62, v66
	v_dual_mul_f32 v66, v42, v13 :: v_dual_and_b32 v63, 0xffff, v63
	s_waitcnt lgkmcnt(0)
	v_mul_f32_e32 v67, v45, v15
	s_delay_alu instid0(VALU_DEP_3) | instskip(NEXT) | instid1(VALU_DEP_3)
	v_add_lshl_u32 v113, v50, v62, 3
	v_fmac_f32_e32 v66, v43, v12
	v_mul_u32_u24_e32 v63, 51, v63
	v_mul_f32_e32 v62, v34, v17
	v_mul_lo_u16 v71, 0xa1, v53
	v_fma_f32 v34, v34, v16, -v49
	v_mul_f32_e32 v49, v39, v23
	v_add_nc_u32_e32 v63, v63, v68
	v_fmac_f32_e32 v62, v35, v16
	v_and_b32_e32 v64, 0xffff, v64
	v_lshrrev_b16 v61, 13, v71
	v_mul_f32_e32 v68, v44, v15
	v_add_lshl_u32 v112, v50, v63, 3
	v_add_f32_e32 v75, v25, v62
	v_mul_f32_e32 v63, v37, v19
	v_add_lshl_u32 v110, v50, v64, 3
	v_mul_f32_e32 v64, v36, v19
	s_waitcnt vmcnt(1)
	v_dual_mul_f32 v43, v47, v11 :: v_dual_add_f32 v70, v24, v34
	v_fma_f32 v35, v36, v18, -v63
	s_delay_alu instid0(VALU_DEP_3) | instskip(SKIP_2) | instid1(VALU_DEP_3)
	v_dual_mul_f32 v63, v38, v23 :: v_dual_fmac_f32 v64, v37, v18
	v_mul_f32_e32 v37, v40, v21
	v_mul_lo_u16 v72, 0xa1, v54
	v_dual_mul_f32 v36, v41, v21 :: v_dual_fmac_f32 v63, v39, v22
	v_fma_f32 v39, v42, v12, -v65
	s_waitcnt vmcnt(0)
	v_mul_f32_e32 v65, v58, v7
	ds_load_2addr_b64 v[53:56], v80 offset0:168 offset1:253
	v_lshrrev_b16 v71, 13, v72
	v_mul_lo_u16 v72, v61, 51
	v_fma_f32 v36, v40, v20, -v36
	v_fmac_f32_e32 v37, v41, v20
	v_fma_f32 v38, v38, v22, -v49
	v_fma_f32 v40, v44, v14, -v67
	v_sub_nc_u16 v72, v52, v72
	v_dual_fmac_f32 v68, v45, v14 :: v_dual_mul_f32 v49, v46, v11
	v_dual_mul_f32 v67, v57, v7 :: v_dual_sub_f32 v74, v62, v64
	s_delay_alu instid0(VALU_DEP_3) | instskip(NEXT) | instid1(VALU_DEP_3)
	v_dual_add_f32 v72, v34, v35 :: v_dual_and_b32 v69, 0xff, v72
	v_dual_fmac_f32 v49, v47, v10 :: v_dual_add_f32 v62, v62, v64
	v_fma_f32 v46, v46, v10, -v43
	s_delay_alu instid0(VALU_DEP_4) | instskip(NEXT) | instid1(VALU_DEP_4)
	v_fmac_f32_e32 v67, v58, v6
	v_fma_f32 v24, -0.5, v72, v24
	v_sub_f32_e32 v81, v34, v35
	s_waitcnt lgkmcnt(0)
	v_mul_f32_e32 v41, v54, v9
	v_mul_f32_e32 v42, v53, v9
	;; [unrolled: 1-line block ×3, first 2 shown]
	v_dual_mul_f32 v45, v55, v5 :: v_dual_add_f32 v34, v70, v35
	v_add_f32_e32 v35, v75, v64
	v_fma_f32 v53, v53, v8, -v41
	v_fmac_f32_e32 v42, v54, v8
	v_fma_f32 v43, v55, v4, -v44
	v_fmac_f32_e32 v45, v56, v4
	v_dual_add_f32 v41, v26, v36 :: v_dual_add_f32 v58, v28, v39
	v_add_f32_e32 v55, v27, v37
	v_fma_f32 v25, -0.5, v62, v25
	v_add_f32_e32 v56, v37, v63
	v_add_f32_e32 v62, v39, v40
	v_fma_f32 v54, v57, v6, -v65
	v_add_f32_e32 v65, v29, v66
	v_add_f32_e32 v44, v36, v38
	v_sub_f32_e32 v64, v66, v68
	v_dual_add_f32 v66, v66, v68 :: v_dual_sub_f32 v47, v37, v63
	v_dual_sub_f32 v57, v36, v38 :: v_dual_sub_f32 v70, v39, v40
	v_dual_fmamk_f32 v36, v74, 0x3f5db3d7, v24 :: v_dual_add_f32 v39, v55, v63
	v_dual_fmac_f32 v24, 0xbf5db3d7, v74 :: v_dual_fmac_f32 v27, -0.5, v56
	v_dual_add_f32 v38, v41, v38 :: v_dual_add_f32 v63, v42, v49
	v_fma_f32 v28, -0.5, v62, v28
	v_add_f32_e32 v56, v53, v46
	v_fmamk_f32 v37, v81, 0xbf5db3d7, v25
	v_fmac_f32_e32 v25, 0x3f5db3d7, v81
	v_fma_f32 v26, -0.5, v44, v26
	v_fma_f32 v29, -0.5, v66, v29
	v_dual_add_f32 v55, v30, v53 :: v_dual_add_f32 v66, v43, v54
	v_add_f32_e32 v74, v45, v67
	v_add_f32_e32 v40, v58, v40
	v_dual_add_f32 v41, v65, v68 :: v_dual_sub_f32 v58, v42, v49
	v_add_f32_e32 v62, v31, v42
	v_sub_f32_e32 v65, v53, v46
	v_add_f32_e32 v53, v32, v43
	v_dual_fmamk_f32 v44, v64, 0x3f5db3d7, v28 :: v_dual_fmac_f32 v31, -0.5, v63
	v_fma_f32 v30, -0.5, v56, v30
	v_dual_sub_f32 v68, v45, v67 :: v_dual_sub_f32 v75, v43, v54
	v_dual_add_f32 v72, v33, v45 :: v_dual_fmamk_f32 v45, v70, 0xbf5db3d7, v29
	v_fmamk_f32 v43, v57, 0xbf5db3d7, v27
	v_dual_fmamk_f32 v42, v47, 0x3f5db3d7, v26 :: v_dual_fmac_f32 v27, 0x3f5db3d7, v57
	v_fmac_f32_e32 v29, 0x3f5db3d7, v70
	v_dual_fmac_f32 v28, 0xbf5db3d7, v64 :: v_dual_fmac_f32 v33, -0.5, v74
	v_fma_f32 v32, -0.5, v66, v32
	v_dual_fmac_f32 v26, 0xbf5db3d7, v47 :: v_dual_add_f32 v53, v53, v54
	s_barrier
	buffer_gl0_inv
	v_dual_add_f32 v46, v55, v46 :: v_dual_add_f32 v47, v62, v49
	ds_store_2addr_b64 v115, v[34:35], v[36:37] offset1:17
	ds_store_b64 v115, v[24:25] offset:272
	v_fmamk_f32 v25, v65, 0xbf5db3d7, v31
	v_fmamk_f32 v24, v58, 0x3f5db3d7, v30
	v_dual_add_f32 v54, v72, v67 :: v_dual_fmac_f32 v31, 0x3f5db3d7, v65
	v_dual_fmac_f32 v30, 0xbf5db3d7, v58 :: v_dual_fmamk_f32 v35, v75, 0xbf5db3d7, v33
	v_fmamk_f32 v34, v68, 0x3f5db3d7, v32
	v_fmac_f32_e32 v32, 0xbf5db3d7, v68
	v_fmac_f32_e32 v33, 0x3f5db3d7, v75
	ds_store_2addr_b64 v113, v[38:39], v[42:43] offset1:17
	ds_store_b64 v113, v[26:27] offset:272
	ds_store_2addr_b64 v112, v[40:41], v[44:45] offset1:17
	ds_store_b64 v112, v[28:29] offset:272
	ds_store_2addr_b64 v110, v[46:47], v[24:25] offset1:17
	ds_store_b64 v110, v[30:31] offset:272
	ds_store_2addr_b64 v109, v[53:54], v[34:35] offset1:17
	ds_store_b64 v109, v[32:33] offset:272
	s_waitcnt lgkmcnt(0)
	s_barrier
	buffer_gl0_inv
	global_load_b128 v[40:43], v[59:60], off offset:288
	v_mul_lo_u16 v73, v71, 51
	v_lshlrev_b32_e32 v25, 5, v69
	global_load_b128 v[44:47], v[59:60], off offset:272
	v_cndmask_b32_e64 v65, 0, 0xff, s0
	v_sub_nc_u16 v24, v51, v73
	global_load_b128 v[36:39], v25, s[2:3] offset:272
	v_and_b32_e32 v57, 0xffff, v61
	v_add_nc_u32_e32 v48, v48, v65
	v_and_b32_e32 v61, 0xffff, v71
	v_and_b32_e32 v49, 0xff, v24
	s_delay_alu instid0(VALU_DEP_4) | instskip(NEXT) | instid1(VALU_DEP_3)
	v_mul_u32_u24_e32 v70, 0xff, v57
	v_mul_u32_u24_e32 v73, 0xff, v61
	s_delay_alu instid0(VALU_DEP_3)
	v_lshlrev_b32_e32 v24, 5, v49
	s_clause 0x2
	global_load_b128 v[32:35], v25, s[2:3] offset:288
	global_load_b128 v[28:31], v24, s[2:3] offset:272
	global_load_b128 v[24:27], v24, s[2:3] offset:288
	ds_load_2addr_b64 v[65:68], v78 offset0:124 offset1:209
	ds_load_2addr_b64 v[53:56], v106 offset0:170 offset1:255
	;; [unrolled: 1-line block ×3, first 2 shown]
	v_add_nc_u32_e32 v49, v73, v49
	ds_load_2addr_b64 v[61:64], v80 offset0:168 offset1:253
	v_add_nc_u32_e32 v74, v70, v69
	ds_load_2addr_b64 v[69:72], v77 offset0:84 offset1:169
	ds_load_2addr_b64 v[81:84], v76 offset0:82 offset1:167
	v_add_lshl_u32 v108, v50, v49, 3
	s_waitcnt vmcnt(5) lgkmcnt(5)
	v_dual_mul_f32 v92, v66, v43 :: v_dual_lshlrev_b32 v75, 5, v104
	v_mul_f32_e32 v93, v65, v43
	v_add_lshl_u32 v114, v50, v48, 3
	ds_load_2addr_b64 v[85:88], v106 offset1:85
	ds_load_b64 v[48:49], v106 offset:9520
	s_waitcnt vmcnt(4) lgkmcnt(6)
	v_mul_f32_e32 v73, v55, v45
	s_waitcnt lgkmcnt(4)
	v_dual_mul_f32 v89, v57, v47 :: v_dual_mul_f32 v90, v64, v41
	s_waitcnt vmcnt(3)
	v_mul_f32_e32 v96, v60, v39
	v_mul_f32_e32 v97, v59, v39
	v_add_lshl_u32 v111, v50, v74, 3
	v_mul_f32_e32 v50, v56, v45
	v_dual_mul_f32 v74, v58, v47 :: v_dual_mul_f32 v91, v63, v41
	s_waitcnt lgkmcnt(3)
	v_mul_f32_e32 v94, v70, v37
	v_mul_f32_e32 v95, v69, v37
	v_fma_f32 v50, v55, v44, -v50
	v_fmac_f32_e32 v73, v56, v44
	v_fma_f32 v55, v57, v46, -v74
	s_waitcnt vmcnt(2)
	v_mul_f32_e32 v102, v67, v35
	s_waitcnt lgkmcnt(2)
	v_mul_f32_e32 v98, v82, v33
	v_mul_f32_e32 v99, v81, v33
	s_waitcnt vmcnt(1)
	v_dual_mul_f32 v101, v68, v35 :: v_dual_mul_f32 v116, v71, v29
	s_waitcnt vmcnt(0)
	v_dual_mul_f32 v117, v62, v31 :: v_dual_mul_f32 v120, v83, v25
	s_waitcnt lgkmcnt(0)
	v_mul_f32_e32 v121, v49, v27
	v_mul_f32_e32 v122, v48, v27
	v_dual_mul_f32 v119, v84, v25 :: v_dual_mul_f32 v118, v61, v31
	v_mul_f32_e32 v107, v72, v29
	v_dual_fmac_f32 v89, v58, v46 :: v_dual_fmac_f32 v116, v72, v28
	v_fma_f32 v63, v63, v40, -v90
	v_fmac_f32_e32 v91, v64, v40
	v_fma_f32 v74, v65, v42, -v92
	v_dual_fmac_f32 v93, v66, v42 :: v_dual_fmac_f32 v120, v84, v24
	v_fma_f32 v56, v69, v36, -v94
	v_fma_f32 v57, v59, v38, -v96
	v_fmac_f32_e32 v97, v60, v38
	v_fma_f32 v65, v81, v32, -v98
	v_fma_f32 v81, v67, v34, -v101
	v_fmac_f32_e32 v122, v49, v26
	v_fma_f32 v69, v83, v24, -v119
	v_fma_f32 v83, v48, v26, -v121
	v_dual_add_f32 v48, v85, v50 :: v_dual_fmac_f32 v99, v82, v32
	v_dual_sub_f32 v84, v89, v91 :: v_dual_fmac_f32 v95, v70, v36
	v_fmac_f32_e32 v102, v68, v34
	v_fma_f32 v59, v61, v30, -v117
	v_fmac_f32_e32 v118, v62, v30
	v_fma_f32 v58, v71, v28, -v107
	v_dual_add_f32 v49, v55, v63 :: v_dual_add_f32 v62, v50, v74
	v_dual_sub_f32 v66, v63, v74 :: v_dual_add_f32 v67, v86, v73
	v_dual_add_f32 v68, v89, v91 :: v_dual_sub_f32 v107, v56, v57
	v_dual_add_f32 v72, v73, v93 :: v_dual_sub_f32 v131, v99, v102
	v_dual_sub_f32 v82, v73, v93 :: v_dual_sub_f32 v61, v74, v63
	v_sub_f32_e32 v64, v55, v50
	v_dual_add_f32 v94, v87, v56 :: v_dual_add_f32 v119, v56, v81
	v_dual_add_f32 v96, v57, v65 :: v_dual_sub_f32 v135, v118, v120
	v_dual_add_f32 v125, v97, v99 :: v_dual_sub_f32 v126, v56, v81
	v_sub_f32_e32 v60, v50, v55
	v_dual_sub_f32 v50, v50, v74 :: v_dual_sub_f32 v71, v93, v91
	v_dual_sub_f32 v70, v73, v89 :: v_dual_sub_f32 v129, v102, v99
	v_dual_sub_f32 v123, v65, v81 :: v_dual_add_f32 v124, v88, v95
	v_dual_sub_f32 v127, v57, v65 :: v_dual_add_f32 v130, v95, v102
	v_dual_add_f32 v132, v53, v58 :: v_dual_add_f32 v133, v59, v69
	v_dual_sub_f32 v90, v55, v63 :: v_dual_sub_f32 v117, v81, v65
	v_sub_f32_e32 v73, v89, v73
	v_dual_sub_f32 v92, v91, v93 :: v_dual_sub_f32 v101, v97, v99
	v_dual_sub_f32 v98, v95, v102 :: v_dual_sub_f32 v121, v57, v56
	;; [unrolled: 1-line block ×3, first 2 shown]
	v_dual_add_f32 v138, v58, v83 :: v_dual_sub_f32 v145, v116, v118
	v_dual_sub_f32 v140, v69, v83 :: v_dual_add_f32 v141, v54, v116
	v_dual_add_f32 v142, v118, v120 :: v_dual_add_f32 v147, v116, v122
	v_dual_sub_f32 v146, v122, v120 :: v_dual_add_f32 v149, v48, v55
	v_fma_f32 v48, -0.5, v49, v85
	v_fma_f32 v55, -0.5, v62, v85
	v_add_f32_e32 v62, v67, v89
	v_fma_f32 v49, -0.5, v68, v86
	v_fma_f32 v56, -0.5, v72, v86
	v_dual_sub_f32 v134, v116, v122 :: v_dual_sub_f32 v137, v83, v69
	v_dual_sub_f32 v136, v58, v59 :: v_dual_sub_f32 v139, v59, v58
	;; [unrolled: 1-line block ×3, first 2 shown]
	v_dual_sub_f32 v116, v118, v116 :: v_dual_add_f32 v85, v64, v66
	v_dual_sub_f32 v148, v120, v122 :: v_dual_add_f32 v89, v70, v71
	v_add_f32_e32 v66, v94, v57
	v_fma_f32 v57, -0.5, v96, v87
	v_fma_f32 v87, -0.5, v119, v87
	;; [unrolled: 1-line block ×3, first 2 shown]
	v_add_f32_e32 v68, v124, v97
	v_fmac_f32_e32 v88, -0.5, v130
	v_add_f32_e32 v70, v132, v59
	v_fma_f32 v59, -0.5, v133, v53
	v_dual_add_f32 v150, v60, v61 :: v_dual_add_f32 v95, v95, v131
	v_dual_add_f32 v86, v73, v92 :: v_dual_add_f32 v97, v136, v137
	;; [unrolled: 1-line block ×3, first 2 shown]
	v_dual_add_f32 v94, v121, v123 :: v_dual_fmamk_f32 v61, v82, 0x3f737871, v48
	v_fma_f32 v53, -0.5, v138, v53
	v_add_f32_e32 v72, v141, v118
	v_fma_f32 v60, -0.5, v142, v54
	v_dual_add_f32 v117, v145, v146 :: v_dual_add_f32 v96, v128, v129
	v_add_f32_e32 v91, v62, v91
	v_fmac_f32_e32 v54, -0.5, v147
	v_dual_fmamk_f32 v62, v50, 0xbf737871, v49 :: v_dual_add_f32 v73, v73, v74
	v_fmamk_f32 v63, v84, 0xbf737871, v55
	v_fmac_f32_e32 v55, 0x3f737871, v84
	v_dual_fmac_f32 v48, 0xbf737871, v82 :: v_dual_add_f32 v99, v68, v99
	v_dual_fmac_f32 v49, 0x3f737871, v50 :: v_dual_fmamk_f32 v64, v90, 0x3f737871, v56
	v_dual_fmac_f32 v56, 0xbf737871, v90 :: v_dual_add_f32 v119, v70, v69
	v_add_f32_e32 v107, v139, v140
	v_dual_add_f32 v116, v116, v148 :: v_dual_fmamk_f32 v67, v101, 0xbf737871, v87
	v_add_f32_e32 v118, v66, v65
	v_fmamk_f32 v65, v98, 0x3f737871, v57
	v_fmac_f32_e32 v87, 0x3f737871, v101
	v_dual_fmamk_f32 v66, v126, 0xbf737871, v58 :: v_dual_fmamk_f32 v71, v135, 0xbf737871, v53
	v_fmac_f32_e32 v57, 0xbf737871, v98
	v_dual_fmac_f32 v58, 0x3f737871, v126 :: v_dual_fmamk_f32 v69, v134, 0x3f737871, v59
	v_dual_fmamk_f32 v68, v127, 0x3f737871, v88 :: v_dual_fmac_f32 v53, 0x3f737871, v135
	v_dual_fmac_f32 v59, 0xbf737871, v134 :: v_dual_fmac_f32 v88, 0xbf737871, v127
	v_dual_add_f32 v81, v118, v81 :: v_dual_add_f32 v120, v72, v120
	v_fmac_f32_e32 v63, 0x3f167918, v82
	v_fmamk_f32 v70, v143, 0xbf737871, v60
	v_fmac_f32_e32 v60, 0x3f737871, v143
	v_dual_fmamk_f32 v72, v144, 0x3f737871, v54 :: v_dual_add_f32 v83, v119, v83
	v_fmac_f32_e32 v54, 0xbf737871, v144
	v_dual_fmac_f32 v61, 0x3f167918, v84 :: v_dual_add_f32 v74, v91, v93
	v_dual_fmac_f32 v62, 0xbf167918, v90 :: v_dual_fmac_f32 v57, 0xbf167918, v101
	v_dual_fmac_f32 v48, 0xbf167918, v84 :: v_dual_fmac_f32 v55, 0xbf167918, v82
	;; [unrolled: 1-line block ×7, first 2 shown]
	v_fmac_f32_e32 v68, 0xbf167918, v126
	v_fmac_f32_e32 v88, 0x3f167918, v126
	v_dual_add_f32 v82, v99, v102 :: v_dual_fmac_f32 v69, 0x3f167918, v135
	v_dual_fmac_f32 v71, 0x3f167918, v134 :: v_dual_fmac_f32 v54, 0x3f167918, v143
	v_dual_fmac_f32 v53, 0xbf167918, v134 :: v_dual_fmac_f32 v70, 0xbf167918, v144
	v_fmac_f32_e32 v72, 0xbf167918, v143
	v_dual_fmac_f32 v61, 0x3e9e377a, v150 :: v_dual_fmac_f32 v62, 0x3e9e377a, v89
	v_dual_add_f32 v84, v120, v122 :: v_dual_fmac_f32 v63, 0x3e9e377a, v85
	v_dual_fmac_f32 v48, 0x3e9e377a, v150 :: v_dual_fmac_f32 v55, 0x3e9e377a, v85
	v_dual_fmac_f32 v49, 0x3e9e377a, v89 :: v_dual_fmac_f32 v64, 0x3e9e377a, v86
	;; [unrolled: 1-line block ×7, first 2 shown]
	s_barrier
	buffer_gl0_inv
	v_dual_fmac_f32 v59, 0x3e9e377a, v97 :: v_dual_fmac_f32 v72, 0x3e9e377a, v116
	v_dual_fmac_f32 v71, 0x3e9e377a, v107 :: v_dual_fmac_f32 v70, 0x3e9e377a, v117
	;; [unrolled: 1-line block ×3, first 2 shown]
	v_fmac_f32_e32 v54, 0x3e9e377a, v116
	ds_store_2addr_b64 v114, v[73:74], v[61:62] offset1:51
	ds_store_2addr_b64 v114, v[63:64], v[55:56] offset0:102 offset1:153
	ds_store_b64 v114, v[48:49] offset:1632
	ds_store_2addr_b64 v111, v[81:82], v[65:66] offset1:51
	ds_store_2addr_b64 v111, v[67:68], v[87:88] offset0:102 offset1:153
	ds_store_b64 v111, v[57:58] offset:1632
	;; [unrolled: 3-line block ×3, first 2 shown]
	v_lshlrev_b32_e32 v48, 5, v52
	s_waitcnt lgkmcnt(0)
	s_barrier
	buffer_gl0_inv
	s_clause 0x2
	global_load_b128 v[64:67], v75, s[2:3] offset:1904
	global_load_b128 v[68:71], v75, s[2:3] offset:1920
	;; [unrolled: 1-line block ×3, first 2 shown]
	v_lshlrev_b32_e32 v49, 5, v51
	s_clause 0x2
	global_load_b128 v[60:63], v48, s[2:3] offset:1920
	global_load_b128 v[56:59], v49, s[2:3] offset:1904
	;; [unrolled: 1-line block ×3, first 2 shown]
	ds_load_2addr_b64 v[72:75], v106 offset0:170 offset1:255
	ds_load_2addr_b64 v[84:87], v79 offset0:126 offset1:211
	ds_load_2addr_b64 v[88:91], v80 offset0:168 offset1:253
	ds_load_2addr_b64 v[92:95], v78 offset0:124 offset1:209
	ds_load_2addr_b64 v[96:99], v77 offset0:84 offset1:169
	ds_load_2addr_b64 v[76:79], v76 offset0:82 offset1:167
	ds_load_2addr_b64 v[80:83], v106 offset1:85
	ds_load_b64 v[101:102], v106 offset:9520
	v_lshl_add_u32 v107, v104, 3, v105
	v_lshl_add_u32 v116, v104, 3, v105
	s_delay_alu instid0(VALU_DEP_2)
	v_add_nc_u32_e32 v119, 0x1000, v107
	v_add_nc_u32_e32 v117, 0x400, v107
	;; [unrolled: 1-line block ×5, first 2 shown]
	s_waitcnt vmcnt(5) lgkmcnt(7)
	v_mul_f32_e32 v123, v75, v65
	s_waitcnt vmcnt(3) lgkmcnt(3)
	v_mul_f32_e32 v132, v96, v53
	v_dual_mul_f32 v128, v90, v69 :: v_dual_mul_f32 v129, v93, v71
	v_dual_mul_f32 v124, v74, v65 :: v_dual_mul_f32 v125, v85, v67
	v_mul_f32_e32 v127, v91, v69
	v_fma_f32 v74, v74, v64, -v123
	s_delay_alu instid0(VALU_DEP_4)
	v_fmac_f32_e32 v128, v91, v68
	v_fma_f32 v91, v92, v70, -v129
	v_mul_f32_e32 v131, v97, v53
	s_waitcnt vmcnt(0) lgkmcnt(0)
	v_dual_mul_f32 v145, v102, v51 :: v_dual_fmac_f32 v124, v75, v64
	v_fma_f32 v75, v84, v66, -v125
	v_mul_f32_e32 v134, v86, v55
	v_fma_f32 v90, v90, v68, -v127
	v_mul_f32_e32 v126, v84, v67
	v_sub_f32_e32 v129, v74, v91
	v_mul_f32_e32 v142, v88, v59
	v_mul_f32_e32 v133, v87, v55
	v_mul_f32_e32 v135, v77, v61
	v_dual_mul_f32 v140, v98, v57 :: v_dual_mul_f32 v141, v89, v59
	v_fma_f32 v84, v96, v52, -v131
	v_fmac_f32_e32 v142, v89, v58
	v_sub_f32_e32 v89, v75, v74
	v_fmac_f32_e32 v134, v87, v54
	v_sub_f32_e32 v87, v91, v90
	v_dual_fmac_f32 v126, v85, v66 :: v_dual_sub_f32 v85, v74, v75
	v_mul_f32_e32 v130, v92, v71
	v_dual_mul_f32 v136, v76, v61 :: v_dual_mul_f32 v137, v95, v63
	v_dual_mul_f32 v138, v94, v63 :: v_dual_mul_f32 v139, v99, v57
	v_mul_f32_e32 v143, v79, v49
	v_dual_mul_f32 v144, v78, v49 :: v_dual_sub_f32 v131, v75, v90
	v_fma_f32 v92, v86, v54, -v133
	v_dual_sub_f32 v127, v126, v128 :: v_dual_fmac_f32 v130, v93, v70
	v_mul_f32_e32 v146, v101, v51
	v_fma_f32 v93, v76, v60, -v135
	v_add_nc_u32_e32 v120, 0x1800, v107
	v_fmac_f32_e32 v132, v97, v52
	v_fma_f32 v123, v94, v62, -v137
	v_fma_f32 v76, v98, v56, -v139
	v_dual_add_f32 v135, v92, v93 :: v_dual_fmac_f32 v140, v99, v56
	v_fma_f32 v96, v78, v48, -v143
	s_delay_alu instid0(VALU_DEP_4)
	v_dual_fmac_f32 v144, v79, v48 :: v_dual_sub_f32 v151, v84, v123
	v_fma_f32 v125, v101, v50, -v145
	v_add_f32_e32 v79, v75, v90
	v_add_f32_e32 v97, v126, v128
	v_sub_f32_e32 v101, v126, v124
	v_add_f32_e32 v99, v124, v130
	v_dual_fmac_f32 v146, v102, v50 :: v_dual_sub_f32 v143, v123, v93
	v_dual_add_f32 v133, v82, v84 :: v_dual_fmac_f32 v138, v95, v62
	v_fmac_f32_e32 v136, v77, v60
	v_fma_f32 v77, v88, v58, -v141
	v_dual_add_f32 v95, v81, v124 :: v_dual_add_f32 v78, v80, v74
	v_dual_add_f32 v149, v83, v132 :: v_dual_add_f32 v88, v74, v91
	v_dual_sub_f32 v147, v92, v84 :: v_dual_sub_f32 v94, v90, v91
	v_sub_f32_e32 v153, v132, v134
	v_dual_sub_f32 v74, v124, v126 :: v_dual_sub_f32 v169, v77, v96
	v_sub_f32_e32 v137, v132, v138
	v_sub_f32_e32 v139, v134, v136
	v_dual_sub_f32 v98, v130, v128 :: v_dual_add_f32 v155, v132, v138
	v_sub_f32_e32 v141, v84, v92
	v_dual_sub_f32 v102, v124, v130 :: v_dual_add_f32 v167, v142, v144
	v_dual_sub_f32 v124, v128, v130 :: v_dual_add_f32 v173, v85, v87
	v_add_f32_e32 v145, v84, v123
	v_dual_sub_f32 v148, v93, v123 :: v_dual_add_f32 v157, v72, v76
	v_dual_add_f32 v150, v134, v136 :: v_dual_sub_f32 v159, v140, v146
	v_sub_f32_e32 v152, v92, v93
	v_dual_sub_f32 v132, v134, v132 :: v_dual_add_f32 v163, v76, v125
	v_dual_add_f32 v158, v77, v96 :: v_dual_sub_f32 v165, v96, v125
	v_dual_sub_f32 v160, v142, v144 :: v_dual_add_f32 v171, v140, v146
	v_add_f32_e32 v166, v73, v140
	v_fma_f32 v86, -0.5, v79, v80
	v_add_f32_e32 v79, v95, v126
	v_fma_f32 v87, -0.5, v97, v81
	v_fma_f32 v85, -0.5, v99, v81
	v_dual_sub_f32 v154, v138, v136 :: v_dual_sub_f32 v161, v76, v77
	v_sub_f32_e32 v156, v136, v138
	v_sub_f32_e32 v162, v125, v96
	v_dual_sub_f32 v164, v77, v76 :: v_dual_add_f32 v97, v166, v142
	v_sub_f32_e32 v168, v76, v125
	v_sub_f32_e32 v76, v140, v142
	v_dual_sub_f32 v170, v146, v144 :: v_dual_add_f32 v81, v149, v134
	v_sub_f32_e32 v172, v144, v146
	v_add_f32_e32 v78, v78, v75
	v_fma_f32 v84, -0.5, v88, v80
	v_add_f32_e32 v174, v89, v94
	v_add_f32_e32 v126, v74, v98
	v_fma_f32 v88, -0.5, v135, v82
	v_fma_f32 v82, -0.5, v145, v82
	;; [unrolled: 1-line block ×3, first 2 shown]
	v_dual_add_f32 v80, v133, v92 :: v_dual_fmac_f32 v83, -0.5, v155
	v_sub_f32_e32 v140, v142, v140
	v_add_f32_e32 v92, v157, v77
	v_fma_f32 v74, -0.5, v158, v72
	v_fma_f32 v72, -0.5, v163, v72
	;; [unrolled: 1-line block ×3, first 2 shown]
	v_fmac_f32_e32 v73, -0.5, v171
	v_dual_fmamk_f32 v77, v129, 0xbf737871, v87 :: v_dual_add_f32 v128, v79, v128
	v_fmac_f32_e32 v87, 0x3f737871, v129
	v_fmamk_f32 v79, v131, 0x3f737871, v85
	v_add_f32_e32 v133, v141, v143
	s_delay_alu instid0(VALU_DEP_4)
	v_fmac_f32_e32 v77, 0xbf167918, v131
	v_dual_add_f32 v135, v147, v148 :: v_dual_add_f32 v134, v153, v154
	v_dual_add_f32 v132, v132, v156 :: v_dual_fmamk_f32 v99, v169, 0x3f737871, v73
	v_add_f32_e32 v141, v161, v162
	v_add_f32_e32 v142, v76, v170
	v_dual_add_f32 v140, v140, v172 :: v_dual_fmac_f32 v73, 0xbf737871, v169
	v_fmamk_f32 v76, v102, 0x3f737871, v86
	v_dual_fmac_f32 v86, 0xbf737871, v102 :: v_dual_fmac_f32 v85, 0xbf737871, v131
	v_dual_add_f32 v136, v81, v136 :: v_dual_fmac_f32 v87, 0x3f167918, v131
	v_dual_fmamk_f32 v95, v151, 0xbf737871, v89 :: v_dual_add_f32 v124, v101, v124
	v_dual_add_f32 v93, v80, v93 :: v_dual_fmamk_f32 v80, v139, 0xbf737871, v82
	v_fmac_f32_e32 v82, 0x3f737871, v139
	v_fmac_f32_e32 v89, 0x3f737871, v151
	v_dual_fmamk_f32 v81, v152, 0x3f737871, v83 :: v_dual_add_f32 v90, v78, v90
	v_dual_add_f32 v145, v92, v96 :: v_dual_fmamk_f32 v78, v127, 0xbf737871, v84
	v_fmac_f32_e32 v84, 0x3f737871, v127
	v_fmac_f32_e32 v83, 0xbf737871, v152
	v_fmamk_f32 v96, v159, 0x3f737871, v74
	v_fmac_f32_e32 v74, 0xbf737871, v159
	v_fmamk_f32 v98, v160, 0xbf737871, v72
	v_fmac_f32_e32 v72, 0x3f737871, v160
	v_dual_add_f32 v144, v97, v144 :: v_dual_fmac_f32 v79, 0xbf167918, v129
	v_fmamk_f32 v94, v137, 0x3f737871, v88
	v_dual_fmac_f32 v88, 0xbf737871, v137 :: v_dual_fmamk_f32 v97, v168, 0xbf737871, v75
	v_fmac_f32_e32 v75, 0x3f737871, v168
	v_add_f32_e32 v143, v164, v165
	v_add_f32_e32 v101, v90, v91
	v_dual_add_f32 v91, v144, v146 :: v_dual_fmac_f32 v76, 0x3f167918, v127
	v_fmac_f32_e32 v85, 0x3f167918, v129
	v_dual_fmac_f32 v86, 0xbf167918, v127 :: v_dual_fmac_f32 v95, 0xbf167918, v152
	v_dual_fmac_f32 v78, 0x3f167918, v102 :: v_dual_fmac_f32 v89, 0x3f167918, v152
	v_dual_add_f32 v92, v93, v123 :: v_dual_fmac_f32 v97, 0xbf167918, v169
	v_dual_fmac_f32 v94, 0x3f167918, v139 :: v_dual_fmac_f32 v75, 0x3f167918, v169
	v_dual_fmac_f32 v88, 0xbf167918, v139 :: v_dual_fmac_f32 v99, 0xbf167918, v168
	;; [unrolled: 1-line block ×3, first 2 shown]
	v_dual_fmac_f32 v82, 0xbf167918, v137 :: v_dual_add_f32 v93, v136, v138
	v_dual_fmac_f32 v84, 0xbf167918, v102 :: v_dual_fmac_f32 v81, 0xbf167918, v151
	v_dual_add_f32 v102, v128, v130 :: v_dual_fmac_f32 v83, 0x3f167918, v151
	v_fmac_f32_e32 v96, 0x3f167918, v160
	v_fmac_f32_e32 v74, 0xbf167918, v160
	;; [unrolled: 1-line block ×4, first 2 shown]
	v_dual_add_f32 v90, v145, v125 :: v_dual_fmac_f32 v77, 0x3e9e377a, v126
	v_dual_fmac_f32 v76, 0x3e9e377a, v173 :: v_dual_fmac_f32 v87, 0x3e9e377a, v126
	v_dual_fmac_f32 v86, 0x3e9e377a, v173 :: v_dual_fmac_f32 v79, 0x3e9e377a, v124
	;; [unrolled: 1-line block ×11, first 2 shown]
	v_fmac_f32_e32 v72, 0x3e9e377a, v143
	ds_store_b64 v116, v[101:102]
	ds_store_2addr_b64 v107, v[92:93], v[90:91] offset0:85 offset1:170
	ds_store_2addr_b64 v117, v[76:77], v[94:95] offset0:127 offset1:212
	;; [unrolled: 1-line block ×7, first 2 shown]
	s_waitcnt lgkmcnt(0)
	s_barrier
	buffer_gl0_inv
	s_and_saveexec_b32 s1, vcc_lo
	s_cbranch_execz .LBB0_9
; %bb.8:
	v_add_co_u32 v128, s0, s12, v103
	s_delay_alu instid0(VALU_DEP_1) | instskip(NEXT) | instid1(VALU_DEP_2)
	v_add_co_ci_u32_e64 v129, null, s13, 0, s0
	v_add_co_u32 v122, s0, 0x2000, v128
	s_delay_alu instid0(VALU_DEP_1) | instskip(SKIP_1) | instid1(VALU_DEP_1)
	v_add_co_ci_u32_e64 v123, s0, 0, v129, s0
	v_add_co_u32 v124, s0, 0x27d8, v128
	v_add_co_ci_u32_e64 v125, s0, 0, v129, s0
	global_load_b64 v[122:123], v[122:123], off offset:2008
	v_add_co_u32 v126, s0, 0x3000, v128
	s_clause 0x1
	global_load_b64 v[154:155], v[124:125], off offset:600
	global_load_b64 v[156:157], v[124:125], off offset:1200
	v_add_co_ci_u32_e64 v127, s0, 0, v129, s0
	s_clause 0x5
	global_load_b64 v[158:159], v[124:125], off offset:1800
	global_load_b64 v[160:161], v[124:125], off offset:2400
	;; [unrolled: 1-line block ×6, first 2 shown]
	v_add_co_u32 v124, s0, 0x4000, v128
	s_delay_alu instid0(VALU_DEP_1)
	v_add_co_ci_u32_e64 v125, s0, 0, v129, s0
	s_clause 0x7
	global_load_b64 v[170:171], v[126:127], off offset:3312
	global_load_b64 v[172:173], v[126:127], off offset:3912
	global_load_b64 v[174:175], v[124:125], off offset:416
	global_load_b64 v[176:177], v[124:125], off offset:1016
	global_load_b64 v[178:179], v[124:125], off offset:1616
	global_load_b64 v[180:181], v[124:125], off offset:2216
	global_load_b64 v[182:183], v[124:125], off offset:2816
	global_load_b64 v[184:185], v[124:125], off offset:3416
	ds_load_b64 v[124:125], v116
	s_waitcnt vmcnt(16) lgkmcnt(0)
	v_mul_f32_e32 v126, v125, v123
	v_mul_f32_e32 v127, v124, v123
	s_delay_alu instid0(VALU_DEP_2) | instskip(NEXT) | instid1(VALU_DEP_2)
	v_fma_f32 v126, v124, v122, -v126
	v_fmac_f32_e32 v127, v125, v122
	ds_store_b64 v116, v[126:127]
	ds_load_2addr_b64 v[122:125], v107 offset0:75 offset1:150
	ds_load_2addr_b64 v[126:129], v117 offset0:97 offset1:172
	;; [unrolled: 1-line block ×4, first 2 shown]
	s_waitcnt vmcnt(15) lgkmcnt(3)
	v_mul_f32_e32 v188, v123, v155
	s_waitcnt vmcnt(14)
	v_dual_mul_f32 v186, v122, v155 :: v_dual_mul_f32 v189, v125, v157
	v_add_nc_u32_e32 v187, 0x1c00, v107
	s_waitcnt vmcnt(13) lgkmcnt(2)
	v_dual_mul_f32 v155, v124, v157 :: v_dual_mul_f32 v190, v127, v159
	s_waitcnt vmcnt(12)
	v_dual_mul_f32 v191, v129, v161 :: v_dual_fmac_f32 v186, v123, v154
	ds_load_2addr_b64 v[138:141], v119 offset0:163 offset1:238
	ds_load_2addr_b64 v[142:145], v120 offset0:57 offset1:132
	;; [unrolled: 1-line block ×4, first 2 shown]
	v_mul_f32_e32 v157, v126, v159
	s_waitcnt vmcnt(11) lgkmcnt(5)
	v_dual_mul_f32 v159, v128, v161 :: v_dual_mul_f32 v192, v131, v163
	v_mul_f32_e32 v161, v130, v163
	s_waitcnt vmcnt(9)
	v_mul_f32_e32 v193, v133, v167
	s_waitcnt lgkmcnt(4)
	v_dual_mul_f32 v163, v132, v167 :: v_dual_mul_f32 v194, v135, v165
	v_mul_f32_e32 v167, v134, v165
	s_waitcnt vmcnt(8)
	v_mul_f32_e32 v195, v137, v169
	v_mul_f32_e32 v165, v136, v169
	v_fmac_f32_e32 v155, v125, v156
	v_fmac_f32_e32 v157, v127, v158
	;; [unrolled: 1-line block ×4, first 2 shown]
	s_waitcnt vmcnt(7) lgkmcnt(3)
	v_dual_fmac_f32 v163, v133, v166 :: v_dual_mul_f32 v196, v139, v171
	v_mul_f32_e32 v169, v138, v171
	s_waitcnt vmcnt(3) lgkmcnt(1)
	v_dual_mul_f32 v200, v147, v179 :: v_dual_mul_f32 v197, v141, v173
	s_waitcnt vmcnt(1) lgkmcnt(0)
	v_dual_mul_f32 v202, v151, v183 :: v_dual_mul_f32 v171, v140, v173
	v_mul_f32_e32 v198, v143, v175
	v_mul_f32_e32 v173, v142, v175
	v_mul_f32_e32 v199, v145, v177
	v_mul_f32_e32 v175, v144, v177
	v_mul_f32_e32 v177, v146, v179
	v_mul_f32_e32 v201, v149, v181
	v_mul_f32_e32 v179, v148, v181
	v_mul_f32_e32 v181, v150, v183
	s_waitcnt vmcnt(0)
	v_mul_f32_e32 v203, v153, v185
	v_mul_f32_e32 v183, v152, v185
	v_fma_f32 v185, v122, v154, -v188
	v_fma_f32 v154, v124, v156, -v189
	;; [unrolled: 1-line block ×7, first 2 shown]
	v_fmac_f32_e32 v167, v135, v164
	v_fma_f32 v164, v136, v168, -v195
	v_fmac_f32_e32 v165, v137, v168
	v_fma_f32 v168, v138, v170, -v196
	;; [unrolled: 2-line block ×9, first 2 shown]
	v_fmac_f32_e32 v183, v153, v184
	ds_store_2addr_b64 v107, v[185:186], v[154:155] offset0:75 offset1:150
	ds_store_2addr_b64 v117, v[156:157], v[158:159] offset0:97 offset1:172
	ds_store_2addr_b64 v118, v[160:161], v[162:163] offset0:119 offset1:194
	ds_store_2addr_b64 v119, v[166:167], v[164:165] offset0:13 offset1:88
	ds_store_2addr_b64 v119, v[168:169], v[170:171] offset0:163 offset1:238
	ds_store_2addr_b64 v120, v[172:173], v[174:175] offset0:57 offset1:132
	ds_store_2addr_b64 v187, v[176:177], v[178:179] offset0:79 offset1:154
	ds_store_2addr_b64 v121, v[180:181], v[182:183] offset0:101 offset1:176
.LBB0_9:
	s_or_b32 exec_lo, exec_lo, s1
	s_waitcnt lgkmcnt(0)
	s_barrier
	buffer_gl0_inv
	s_and_saveexec_b32 s0, vcc_lo
	s_cbranch_execz .LBB0_11
; %bb.10:
	v_add_nc_u32_e32 v0, 0x400, v116
	v_add_nc_u32_e32 v1, 0x2000, v116
	;; [unrolled: 1-line block ×6, first 2 shown]
	ds_load_b64 v[101:102], v116
	ds_load_2addr_b64 v[76:79], v116 offset0:75 offset1:150
	ds_load_2addr_b64 v[84:87], v0 offset0:97 offset1:172
	;; [unrolled: 1-line block ×8, first 2 shown]
.LBB0_11:
	s_or_b32 exec_lo, exec_lo, s0
	v_add_nc_u32_e32 v118, 0x2a8, v107
	v_add_nc_u32_e32 v117, 0x550, v107
	s_waitcnt lgkmcnt(0)
	s_barrier
	buffer_gl0_inv
	s_and_saveexec_b32 s0, vcc_lo
	s_cbranch_execz .LBB0_13
; %bb.12:
	v_dual_add_f32 v119, v77, v102 :: v_dual_add_f32 v120, v76, v101
	v_dual_add_f32 v126, v91, v81 :: v_dual_add_f32 v123, v89, v83
	v_dual_sub_f32 v125, v81, v91 :: v_dual_sub_f32 v124, v83, v89
	s_delay_alu instid0(VALU_DEP_3) | instskip(SKIP_2) | instid1(VALU_DEP_3)
	v_dual_add_f32 v119, v79, v119 :: v_dual_add_f32 v120, v78, v120
	v_add_f32_e32 v130, v99, v93
	v_sub_f32_e32 v128, v93, v99
	v_dual_add_f32 v134, v75, v85 :: v_dual_add_f32 v119, v85, v119
	s_delay_alu instid0(VALU_DEP_4) | instskip(SKIP_1) | instid1(VALU_DEP_2)
	v_dual_add_f32 v120, v84, v120 :: v_dual_add_f32 v133, v73, v87
	v_dual_sub_f32 v132, v85, v75 :: v_dual_add_f32 v85, v74, v84
	v_dual_add_f32 v119, v87, v119 :: v_dual_add_f32 v120, v86, v120
	v_sub_f32_e32 v131, v87, v73
	v_dual_add_f32 v137, v3, v77 :: v_dual_add_f32 v138, v1, v79
	v_add_f32_e32 v87, v2, v76
	s_delay_alu instid0(VALU_DEP_4) | instskip(SKIP_2) | instid1(VALU_DEP_3)
	v_dual_add_f32 v119, v93, v119 :: v_dual_add_f32 v120, v92, v120
	v_dual_sub_f32 v136, v79, v1 :: v_dual_add_f32 v129, v97, v95
	v_sub_f32_e32 v127, v95, v97
	v_dual_add_f32 v119, v95, v119 :: v_dual_add_f32 v120, v94, v120
	v_mul_f32_e32 v157, 0xbf7ee86f, v125
	v_mul_f32_e32 v163, 0x3e3c28d5, v132
	;; [unrolled: 1-line block ×3, first 2 shown]
	s_delay_alu instid0(VALU_DEP_4) | instskip(SKIP_2) | instid1(VALU_DEP_3)
	v_dual_add_f32 v119, v81, v119 :: v_dual_add_f32 v120, v80, v120
	v_add_f32_e32 v81, v90, v80
	v_mul_f32_e32 v184, 0x3f2c7751, v132
	v_dual_mul_f32 v200, 0x3f763a35, v132 :: v_dual_add_f32 v121, v83, v119
	s_delay_alu instid0(VALU_DEP_4) | instskip(SKIP_2) | instid1(VALU_DEP_3)
	v_add_f32_e32 v122, v82, v120
	v_dual_sub_f32 v120, v80, v90 :: v_dual_sub_f32 v119, v82, v88
	v_add_f32_e32 v80, v88, v82
	v_dual_add_f32 v82, v89, v121 :: v_dual_add_f32 v83, v88, v122
	v_dual_add_f32 v89, v98, v92 :: v_dual_add_f32 v88, v96, v94
	v_mul_f32_e32 v151, 0xbeb8f4ab, v127
	s_delay_alu instid0(VALU_DEP_3) | instskip(SKIP_2) | instid1(VALU_DEP_3)
	v_dual_add_f32 v91, v91, v82 :: v_dual_add_f32 v90, v90, v83
	v_dual_sub_f32 v83, v92, v98 :: v_dual_sub_f32 v82, v94, v96
	v_mul_f32_e32 v152, 0xbf59a7d5, v123
	v_dual_add_f32 v91, v97, v91 :: v_dual_add_f32 v90, v96, v90
	v_mul_f32_e32 v96, 0xbf763a35, v128
	v_mul_f32_e32 v179, 0xbf7ba420, v130
	s_delay_alu instid0(VALU_DEP_3) | instskip(NEXT) | instid1(VALU_DEP_4)
	v_dual_mul_f32 v211, 0x3f6eb680, v130 :: v_dual_add_f32 v92, v99, v91
	v_add_f32_e32 v93, v98, v90
	v_dual_sub_f32 v91, v84, v74 :: v_dual_sub_f32 v90, v86, v72
	s_delay_alu instid0(VALU_DEP_3) | instskip(NEXT) | instid1(VALU_DEP_3)
	v_dual_add_f32 v84, v72, v86 :: v_dual_add_f32 v73, v73, v92
	v_add_f32_e32 v72, v72, v93
	v_dual_sub_f32 v86, v76, v2 :: v_dual_mul_f32 v121, 0x3f6eb680, v137
	v_sub_f32_e32 v135, v77, v3
	s_delay_alu instid0(VALU_DEP_3) | instskip(SKIP_2) | instid1(VALU_DEP_3)
	v_dual_add_f32 v75, v75, v73 :: v_dual_add_f32 v74, v74, v72
	v_dual_sub_f32 v72, v78, v0 :: v_dual_add_f32 v73, v0, v78
	v_mul_f32_e32 v95, 0xbf2c7751, v136
	v_dual_add_f32 v1, v1, v75 :: v_dual_add_f32 v0, v0, v74
	v_mul_f32_e32 v78, 0x3f3d2fb0, v138
	v_dual_mul_f32 v99, 0xbf65296c, v132 :: v_dual_mul_f32 v150, 0xbf65296c, v135
	s_delay_alu instid0(VALU_DEP_3)
	v_dual_add_f32 v1, v3, v1 :: v_dual_add_f32 v0, v2, v0
	v_fmamk_f32 v2, v86, 0x3eb8f4ab, v121
	v_mul_f32_e32 v77, 0x3ee437d1, v134
	v_fmamk_f32 v79, v73, 0x3f3d2fb0, v95
	v_fmamk_f32 v3, v72, 0x3f2c7751, v78
	v_mul_f32_e32 v76, 0x3dbcf732, v133
	v_add_f32_e32 v2, v102, v2
	v_mul_f32_e32 v75, 0xbe8c1d8e, v130
	v_mul_f32_e32 v74, 0xbf1a4643, v129
	;; [unrolled: 1-line block ×3, first 2 shown]
	s_delay_alu instid0(VALU_DEP_4) | instskip(SKIP_4) | instid1(VALU_DEP_4)
	v_dual_mul_f32 v93, 0xbf06c442, v125 :: v_dual_add_f32 v2, v3, v2
	v_fmamk_f32 v3, v91, 0x3f65296c, v77
	v_mul_f32_e32 v98, 0xbf7ee86f, v131
	v_dual_mul_f32 v94, 0xbf4c4adb, v127 :: v_dual_mul_f32 v155, 0xbf4c4adb, v136
	v_mul_f32_e32 v144, 0xbf7ba420, v134
	v_dual_add_f32 v2, v3, v2 :: v_dual_fmamk_f32 v3, v90, 0x3f7ee86f, v76
	v_mul_f32_e32 v97, 0xbe3c28d5, v124
	s_delay_alu instid0(VALU_DEP_4) | instskip(SKIP_1) | instid1(VALU_DEP_4)
	v_fmamk_f32 v147, v73, 0xbf1a4643, v155
	v_mul_f32_e32 v164, 0x3f763a35, v131
	v_dual_mul_f32 v141, 0xbe8c1d8e, v133 :: v_dual_add_f32 v2, v3, v2
	v_fmamk_f32 v3, v83, 0x3f763a35, v75
	v_mul_f32_e32 v167, 0xbf7ee86f, v136
	v_mul_f32_e32 v154, 0xbf7ba420, v133
	;; [unrolled: 1-line block ×3, first 2 shown]
	s_delay_alu instid0(VALU_DEP_4)
	v_dual_mul_f32 v201, 0x3eb8f4ab, v131 :: v_dual_add_f32 v2, v3, v2
	v_fmamk_f32 v3, v82, 0x3f4c4adb, v74
	v_fmamk_f32 v162, v73, 0x3dbcf732, v167
	v_mul_f32_e32 v194, 0x3f6eb680, v133
	v_mul_f32_e32 v188, 0xbeb8f4ab, v125
	;; [unrolled: 1-line block ×3, first 2 shown]
	v_add_f32_e32 v2, v3, v2
	v_fmamk_f32 v3, v87, 0x3f6eb680, v122
	v_mul_f32_e32 v175, 0x3eb8f4ab, v124
	v_mul_f32_e32 v174, 0x3f6eb680, v123
	;; [unrolled: 1-line block ×3, first 2 shown]
	v_dual_mul_f32 v197, 0xbf7ee86f, v135 :: v_dual_mul_f32 v216, 0xbf7ee86f, v132
	v_dual_add_f32 v3, v101, v3 :: v_dual_mul_f32 v180, 0x3dbcf732, v129
	v_mul_f32_e32 v198, 0xbe3c28d5, v136
	v_mul_f32_e32 v192, 0xbf7ba420, v138
	;; [unrolled: 1-line block ×3, first 2 shown]
	s_delay_alu instid0(VALU_DEP_4)
	v_add_f32_e32 v3, v79, v3
	v_mul_f32_e32 v79, 0xbf59a7d5, v126
	v_mul_f32_e32 v203, 0xbf06c442, v127
	;; [unrolled: 1-line block ×5, first 2 shown]
	v_fmamk_f32 v92, v120, 0x3f06c442, v79
	v_mul_f32_e32 v186, 0xbe3c28d5, v128
	v_mul_f32_e32 v191, 0x3dbcf732, v137
	;; [unrolled: 1-line block ×3, first 2 shown]
	v_dual_mul_f32 v199, 0xbf1a4643, v126 :: v_dual_mul_f32 v210, 0xbf1a4643, v133
	v_add_f32_e32 v2, v92, v2
	v_fmamk_f32 v92, v85, 0x3ee437d1, v99
	v_mul_f32_e32 v190, 0xbf4c4adb, v124
	v_mul_f32_e32 v143, 0xbf1a4643, v138
	;; [unrolled: 1-line block ×4, first 2 shown]
	v_add_f32_e32 v3, v92, v3
	v_fmamk_f32 v92, v84, 0x3dbcf732, v98
	v_fmamk_f32 v140, v72, 0x3f4c4adb, v143
	v_mul_f32_e32 v142, 0x3ee437d1, v137
	v_mul_f32_e32 v214, 0x3f65296c, v136
	s_delay_alu instid0(VALU_DEP_4) | instskip(SKIP_3) | instid1(VALU_DEP_4)
	v_dual_mul_f32 v230, 0x3f763a35, v136 :: v_dual_add_f32 v3, v92, v3
	v_fmamk_f32 v92, v89, 0xbe8c1d8e, v96
	v_mul_f32_e32 v206, 0x3f2c7751, v124
	v_mul_f32_e32 v205, 0x3f3d2fb0, v123
	v_fmamk_f32 v231, v73, 0xbe8c1d8e, v230
	v_mul_f32_e32 v229, 0xbf4c4adb, v135
	v_add_f32_e32 v3, v92, v3
	v_fmamk_f32 v92, v88, 0xbf1a4643, v94
	v_mul_f32_e32 v213, 0xbf06c442, v135
	v_mul_f32_e32 v207, 0xbf59a7d5, v137
	;; [unrolled: 1-line block ×3, first 2 shown]
	v_dual_mul_f32 v215, 0x3f3d2fb0, v126 :: v_dual_mul_f32 v228, 0x3f3d2fb0, v129
	v_dual_add_f32 v3, v92, v3 :: v_dual_fmamk_f32 v92, v81, 0xbf59a7d5, v93
	v_mul_f32_e32 v217, 0x3f4c4adb, v131
	v_mul_f32_e32 v219, 0xbe3c28d5, v127
	v_dual_mul_f32 v221, 0xbe8c1d8e, v123 :: v_dual_mul_f32 v224, 0xbe8c1d8e, v138
	s_delay_alu instid0(VALU_DEP_4)
	v_add_f32_e32 v139, v92, v3
	v_mul_f32_e32 v92, 0xbf7ba420, v123
	v_mul_f32_e32 v223, 0xbf1a4643, v137
	;; [unrolled: 1-line block ×5, first 2 shown]
	v_fmamk_f32 v3, v119, 0x3e3c28d5, v92
	v_mul_f32_e32 v239, 0x3f65296c, v124
	v_mul_f32_e32 v238, 0x3ee437d1, v123
	;; [unrolled: 1-line block ×3, first 2 shown]
	s_delay_alu instid0(VALU_DEP_4)
	v_dual_mul_f32 v136, 0x3eb8f4ab, v136 :: v_dual_add_f32 v3, v3, v2
	v_fmamk_f32 v2, v80, 0xbf7ba420, v97
	v_fmac_f32_e32 v121, 0xbeb8f4ab, v86
	v_fmac_f32_e32 v143, 0xbf4c4adb, v72
	;; [unrolled: 1-line block ×4, first 2 shown]
	v_add_f32_e32 v2, v2, v139
	v_fmamk_f32 v139, v86, 0x3f65296c, v142
	v_fmac_f32_e32 v79, 0xbf06c442, v120
	v_mul_f32_e32 v166, 0xbf2c7751, v135
	v_mul_f32_e32 v153, 0x3f3d2fb0, v137
	s_delay_alu instid0(VALU_DEP_4) | instskip(SKIP_3) | instid1(VALU_DEP_4)
	v_dual_mul_f32 v176, 0xbf59a7d5, v138 :: v_dual_add_f32 v139, v102, v139
	v_mul_f32_e32 v195, 0x3ee437d1, v130
	v_mul_f32_e32 v204, 0x3f4c4adb, v125
	;; [unrolled: 1-line block ×3, first 2 shown]
	v_dual_mul_f32 v212, 0xbf7ba420, v129 :: v_dual_add_f32 v139, v140, v139
	v_fmamk_f32 v140, v91, 0xbe3c28d5, v144
	v_mul_f32_e32 v218, 0xbeb8f4ab, v128
	v_fmac_f32_e32 v142, 0xbf65296c, v86
	v_fmac_f32_e32 v78, 0xbf2c7751, v72
	s_delay_alu instid0(VALU_DEP_4) | instskip(SKIP_2) | instid1(VALU_DEP_2)
	v_dual_fmac_f32 v76, 0xbf7ee86f, v90 :: v_dual_add_f32 v139, v140, v139
	v_fmamk_f32 v140, v90, 0xbf763a35, v141
	v_fmac_f32_e32 v144, 0x3e3c28d5, v91
	v_dual_fmac_f32 v74, 0xbf4c4adb, v82 :: v_dual_add_f32 v139, v140, v139
	v_mul_f32_e32 v140, 0x3f3d2fb0, v130
	s_delay_alu instid0(VALU_DEP_1) | instskip(SKIP_1) | instid1(VALU_DEP_2)
	v_fmamk_f32 v145, v83, 0xbf2c7751, v140
	v_fmac_f32_e32 v140, 0x3f2c7751, v83
	v_add_f32_e32 v145, v145, v139
	v_mul_f32_e32 v139, 0x3f6eb680, v129
	s_delay_alu instid0(VALU_DEP_1) | instskip(NEXT) | instid1(VALU_DEP_1)
	v_fmamk_f32 v146, v82, 0x3eb8f4ab, v139
	v_dual_add_f32 v146, v146, v145 :: v_dual_fmamk_f32 v145, v87, 0x3ee437d1, v150
	s_delay_alu instid0(VALU_DEP_1) | instskip(NEXT) | instid1(VALU_DEP_1)
	v_add_f32_e32 v145, v101, v145
	v_add_f32_e32 v147, v147, v145
	v_mul_f32_e32 v145, 0x3dbcf732, v126
	v_fmac_f32_e32 v92, 0xbe3c28d5, v119
	s_delay_alu instid0(VALU_DEP_2) | instskip(NEXT) | instid1(VALU_DEP_1)
	v_fmamk_f32 v148, v120, 0x3f7ee86f, v145
	v_add_f32_e32 v146, v148, v146
	v_fmamk_f32 v148, v85, 0xbf7ba420, v163
	s_delay_alu instid0(VALU_DEP_1) | instskip(SKIP_2) | instid1(VALU_DEP_2)
	v_add_f32_e32 v147, v148, v147
	v_fmamk_f32 v148, v84, 0xbe8c1d8e, v164
	v_fmac_f32_e32 v141, 0x3f763a35, v90
	v_dual_add_f32 v147, v148, v147 :: v_dual_mul_f32 v156, 0x3f2c7751, v128
	s_delay_alu instid0(VALU_DEP_1) | instskip(NEXT) | instid1(VALU_DEP_1)
	v_fmamk_f32 v148, v89, 0x3f3d2fb0, v156
	v_add_f32_e32 v147, v148, v147
	v_fmamk_f32 v148, v88, 0x3f6eb680, v151
	v_fmac_f32_e32 v139, 0xbeb8f4ab, v82
	s_delay_alu instid0(VALU_DEP_2) | instskip(SKIP_1) | instid1(VALU_DEP_2)
	v_dual_add_f32 v147, v148, v147 :: v_dual_fmamk_f32 v148, v81, 0x3dbcf732, v157
	v_fmac_f32_e32 v145, 0xbf7ee86f, v120
	v_dual_add_f32 v147, v148, v147 :: v_dual_fmamk_f32 v148, v119, 0x3f06c442, v152
	s_delay_alu instid0(VALU_DEP_1) | instskip(SKIP_1) | instid1(VALU_DEP_1)
	v_add_f32_e32 v160, v148, v146
	v_fmamk_f32 v146, v80, 0xbf59a7d5, v165
	v_add_f32_e32 v159, v146, v147
	v_fmamk_f32 v146, v86, 0x3f2c7751, v153
	v_fmac_f32_e32 v153, 0xbf2c7751, v86
	s_delay_alu instid0(VALU_DEP_2) | instskip(SKIP_1) | instid1(VALU_DEP_1)
	v_add_f32_e32 v147, v102, v146
	v_mul_f32_e32 v146, 0x3dbcf732, v138
	v_fmamk_f32 v148, v72, 0x3f7ee86f, v146
	s_delay_alu instid0(VALU_DEP_1) | instskip(SKIP_1) | instid1(VALU_DEP_2)
	v_dual_add_f32 v147, v148, v147 :: v_dual_mul_f32 v148, 0xbf1a4643, v134
	v_fmac_f32_e32 v146, 0xbf7ee86f, v72
	v_fmamk_f32 v149, v91, 0x3f4c4adb, v148
	v_fmac_f32_e32 v148, 0xbf4c4adb, v91
	s_delay_alu instid0(VALU_DEP_2) | instskip(SKIP_1) | instid1(VALU_DEP_1)
	v_add_f32_e32 v147, v149, v147
	v_fmamk_f32 v149, v90, 0x3e3c28d5, v154
	v_dual_fmac_f32 v154, 0xbe3c28d5, v90 :: v_dual_add_f32 v147, v149, v147
	v_mul_f32_e32 v149, 0xbf59a7d5, v130
	s_delay_alu instid0(VALU_DEP_1) | instskip(SKIP_1) | instid1(VALU_DEP_2)
	v_fmamk_f32 v158, v83, 0xbf06c442, v149
	v_fmac_f32_e32 v149, 0x3f06c442, v83
	v_dual_add_f32 v158, v158, v147 :: v_dual_mul_f32 v147, 0xbe8c1d8e, v129
	v_mul_f32_e32 v129, 0x3ee437d1, v129
	s_delay_alu instid0(VALU_DEP_2) | instskip(NEXT) | instid1(VALU_DEP_1)
	v_fmamk_f32 v161, v82, 0xbf763a35, v147
	v_dual_add_f32 v161, v161, v158 :: v_dual_fmamk_f32 v158, v87, 0x3f3d2fb0, v166
	s_delay_alu instid0(VALU_DEP_1) | instskip(NEXT) | instid1(VALU_DEP_1)
	v_add_f32_e32 v158, v101, v158
	v_add_f32_e32 v162, v162, v158
	v_mul_f32_e32 v158, 0x3ee437d1, v126
	s_delay_alu instid0(VALU_DEP_1) | instskip(NEXT) | instid1(VALU_DEP_1)
	v_fmamk_f32 v168, v120, 0xbf65296c, v158
	v_dual_add_f32 v161, v168, v161 :: v_dual_mul_f32 v168, 0xbf4c4adb, v132
	s_delay_alu instid0(VALU_DEP_1) | instskip(NEXT) | instid1(VALU_DEP_1)
	v_fmamk_f32 v169, v85, 0xbf1a4643, v168
	v_dual_add_f32 v162, v169, v162 :: v_dual_mul_f32 v169, 0xbe3c28d5, v131
	s_delay_alu instid0(VALU_DEP_1) | instskip(NEXT) | instid1(VALU_DEP_1)
	v_fmamk_f32 v170, v84, 0xbf7ba420, v169
	v_add_f32_e32 v162, v170, v162
	v_mul_f32_e32 v170, 0x3f06c442, v128
	s_delay_alu instid0(VALU_DEP_1) | instskip(NEXT) | instid1(VALU_DEP_1)
	v_fmamk_f32 v171, v89, 0xbf59a7d5, v170
	v_dual_add_f32 v162, v171, v162 :: v_dual_mul_f32 v171, 0x3f763a35, v127
	s_delay_alu instid0(VALU_DEP_1) | instskip(SKIP_1) | instid1(VALU_DEP_2)
	v_fmamk_f32 v172, v88, 0xbe8c1d8e, v171
	v_fmac_f32_e32 v147, 0x3f763a35, v82
	v_add_f32_e32 v162, v172, v162
	v_mul_f32_e32 v172, 0x3f65296c, v125
	s_delay_alu instid0(VALU_DEP_1) | instskip(NEXT) | instid1(VALU_DEP_1)
	v_fmamk_f32 v173, v81, 0x3ee437d1, v172
	v_dual_fmac_f32 v158, 0x3f65296c, v120 :: v_dual_add_f32 v173, v173, v162
	v_fmamk_f32 v162, v119, 0xbeb8f4ab, v174
	s_delay_alu instid0(VALU_DEP_1) | instskip(NEXT) | instid1(VALU_DEP_1)
	v_dual_add_f32 v162, v162, v161 :: v_dual_fmamk_f32 v161, v80, 0x3f6eb680, v175
	v_dual_fmac_f32 v174, 0x3eb8f4ab, v119 :: v_dual_add_f32 v161, v161, v173
	v_mul_lo_u16 v173, v104, 17
	s_delay_alu instid0(VALU_DEP_1) | instskip(NEXT) | instid1(VALU_DEP_1)
	v_and_b32_e32 v173, 0xffff, v173
	v_lshl_add_u32 v105, v173, 3, v105
	v_mul_f32_e32 v173, 0xbe8c1d8e, v137
	ds_store_2addr_b64 v105, v[0:1], v[2:3] offset1:1
	ds_store_2addr_b64 v105, v[161:162], v[159:160] offset0:2 offset1:3
	v_fmamk_f32 v0, v86, 0x3f763a35, v173
	v_fmamk_f32 v1, v72, 0xbf06c442, v176
	;; [unrolled: 1-line block ×5, first 2 shown]
	v_dual_add_f32 v0, v102, v0 :: v_dual_fmamk_f32 v161, v73, 0x3ee437d1, v214
	v_fmamk_f32 v160, v72, 0xbf65296c, v208
	v_fmamk_f32 v162, v72, 0xbf763a35, v224
	v_mul_f32_e32 v222, 0xbf763a35, v124
	s_delay_alu instid0(VALU_DEP_4)
	v_dual_add_f32 v0, v1, v0 :: v_dual_fmamk_f32 v1, v91, 0xbf2c7751, v177
	v_fmac_f32_e32 v208, 0x3f65296c, v72
	v_fmac_f32_e32 v224, 0x3f763a35, v72
	;; [unrolled: 1-line block ×4, first 2 shown]
	v_dual_add_f32 v0, v1, v0 :: v_dual_fmamk_f32 v1, v90, 0x3f65296c, v178
	s_delay_alu instid0(VALU_DEP_1) | instskip(NEXT) | instid1(VALU_DEP_1)
	v_dual_add_f32 v0, v1, v0 :: v_dual_fmamk_f32 v1, v83, 0x3e3c28d5, v179
	v_dual_add_f32 v0, v1, v0 :: v_dual_fmamk_f32 v1, v82, 0xbf7ee86f, v180
	s_delay_alu instid0(VALU_DEP_1) | instskip(SKIP_1) | instid1(VALU_DEP_2)
	v_dual_add_f32 v0, v1, v0 :: v_dual_fmamk_f32 v1, v87, 0xbe8c1d8e, v181
	v_fmac_f32_e32 v173, 0xbf763a35, v86
	v_add_f32_e32 v1, v101, v1
	s_delay_alu instid0(VALU_DEP_1) | instskip(NEXT) | instid1(VALU_DEP_1)
	v_dual_add_f32 v1, v2, v1 :: v_dual_fmamk_f32 v2, v120, 0x3eb8f4ab, v183
	v_add_f32_e32 v0, v2, v0
	v_fmamk_f32 v2, v85, 0x3f3d2fb0, v184
	v_fmac_f32_e32 v177, 0x3f2c7751, v91
	s_delay_alu instid0(VALU_DEP_2) | instskip(NEXT) | instid1(VALU_DEP_1)
	v_dual_add_f32 v1, v2, v1 :: v_dual_fmamk_f32 v2, v84, 0x3ee437d1, v185
	v_dual_add_f32 v1, v2, v1 :: v_dual_fmamk_f32 v2, v89, 0xbf7ba420, v186
	s_delay_alu instid0(VALU_DEP_1) | instskip(NEXT) | instid1(VALU_DEP_1)
	v_dual_add_f32 v1, v2, v1 :: v_dual_fmamk_f32 v2, v88, 0x3dbcf732, v187
	v_dual_add_f32 v1, v2, v1 :: v_dual_fmamk_f32 v2, v81, 0x3f6eb680, v188
	s_delay_alu instid0(VALU_DEP_1) | instskip(SKIP_1) | instid1(VALU_DEP_1)
	v_dual_fmac_f32 v183, 0xbeb8f4ab, v120 :: v_dual_add_f32 v2, v2, v1
	v_fmamk_f32 v1, v119, 0x3f4c4adb, v189
	v_dual_add_f32 v1, v1, v0 :: v_dual_fmamk_f32 v0, v80, 0xbf1a4643, v190
	v_fmac_f32_e32 v178, 0xbf65296c, v90
	s_delay_alu instid0(VALU_DEP_2) | instskip(SKIP_1) | instid1(VALU_DEP_1)
	v_dual_fmac_f32 v189, 0xbf4c4adb, v119 :: v_dual_add_f32 v0, v0, v2
	v_fmamk_f32 v2, v86, 0x3f7ee86f, v191
	v_add_f32_e32 v2, v102, v2
	s_delay_alu instid0(VALU_DEP_1) | instskip(SKIP_1) | instid1(VALU_DEP_1)
	v_add_f32_e32 v2, v3, v2
	v_fmamk_f32 v3, v91, 0xbf763a35, v193
	v_dual_add_f32 v2, v3, v2 :: v_dual_fmamk_f32 v3, v90, 0xbeb8f4ab, v194
	s_delay_alu instid0(VALU_DEP_1) | instskip(SKIP_1) | instid1(VALU_DEP_1)
	v_add_f32_e32 v2, v3, v2
	v_fmamk_f32 v3, v83, 0x3f65296c, v195
	v_dual_fmac_f32 v195, 0xbf65296c, v83 :: v_dual_add_f32 v2, v3, v2
	v_fmamk_f32 v3, v82, 0x3f06c442, v196
	v_fmac_f32_e32 v191, 0xbf7ee86f, v86
	s_delay_alu instid0(VALU_DEP_2) | instskip(SKIP_1) | instid1(VALU_DEP_1)
	v_add_f32_e32 v2, v3, v2
	v_fmamk_f32 v3, v87, 0x3dbcf732, v197
	v_dual_fmac_f32 v180, 0x3f7ee86f, v82 :: v_dual_add_f32 v3, v101, v3
	s_delay_alu instid0(VALU_DEP_1) | instskip(SKIP_1) | instid1(VALU_DEP_1)
	v_add_f32_e32 v3, v159, v3
	v_fmamk_f32 v159, v120, 0xbf4c4adb, v199
	v_dual_fmac_f32 v199, 0x3f4c4adb, v120 :: v_dual_add_f32 v2, v159, v2
	v_fmamk_f32 v159, v85, 0xbe8c1d8e, v200
	s_delay_alu instid0(VALU_DEP_1) | instskip(SKIP_1) | instid1(VALU_DEP_1)
	v_dual_mul_f32 v202, 0xbf65296c, v128 :: v_dual_add_f32 v3, v159, v3
	v_fmamk_f32 v159, v84, 0x3f6eb680, v201
	v_dual_fmac_f32 v194, 0x3eb8f4ab, v90 :: v_dual_add_f32 v3, v159, v3
	s_delay_alu instid0(VALU_DEP_3) | instskip(NEXT) | instid1(VALU_DEP_1)
	v_fmamk_f32 v159, v89, 0x3ee437d1, v202
	v_add_f32_e32 v3, v159, v3
	v_fmamk_f32 v159, v88, 0xbf59a7d5, v203
	s_delay_alu instid0(VALU_DEP_1) | instskip(SKIP_1) | instid1(VALU_DEP_1)
	v_dual_fmac_f32 v196, 0xbf06c442, v82 :: v_dual_add_f32 v3, v159, v3
	v_fmamk_f32 v159, v81, 0xbf1a4643, v204
	v_add_f32_e32 v159, v159, v3
	v_fmamk_f32 v3, v119, 0xbf2c7751, v205
	s_delay_alu instid0(VALU_DEP_1) | instskip(SKIP_1) | instid1(VALU_DEP_2)
	v_dual_add_f32 v3, v3, v2 :: v_dual_fmamk_f32 v2, v80, 0x3f3d2fb0, v206
	v_fmac_f32_e32 v205, 0x3f2c7751, v119
	v_add_f32_e32 v2, v2, v159
	v_fmamk_f32 v159, v86, 0x3f06c442, v207
	s_delay_alu instid0(VALU_DEP_1) | instskip(NEXT) | instid1(VALU_DEP_1)
	v_add_f32_e32 v159, v102, v159
	v_dual_add_f32 v159, v160, v159 :: v_dual_fmamk_f32 v160, v91, 0x3f7ee86f, v209
	s_delay_alu instid0(VALU_DEP_1) | instskip(NEXT) | instid1(VALU_DEP_1)
	v_dual_add_f32 v159, v160, v159 :: v_dual_fmamk_f32 v160, v90, 0xbf4c4adb, v210
	v_dual_fmac_f32 v210, 0x3f4c4adb, v90 :: v_dual_add_f32 v159, v160, v159
	v_fmamk_f32 v160, v83, 0x3eb8f4ab, v211
	s_delay_alu instid0(VALU_DEP_1) | instskip(NEXT) | instid1(VALU_DEP_1)
	v_dual_add_f32 v159, v160, v159 :: v_dual_fmamk_f32 v160, v82, 0x3e3c28d5, v212
	v_dual_fmac_f32 v212, 0xbe3c28d5, v82 :: v_dual_add_f32 v159, v160, v159
	v_fmamk_f32 v160, v87, 0xbf59a7d5, v213
	s_delay_alu instid0(VALU_DEP_1) | instskip(NEXT) | instid1(VALU_DEP_1)
	v_dual_fmac_f32 v207, 0xbf06c442, v86 :: v_dual_add_f32 v160, v101, v160
	v_dual_fmac_f32 v193, 0x3f763a35, v91 :: v_dual_add_f32 v160, v161, v160
	v_fmamk_f32 v161, v120, 0xbf2c7751, v215
	v_fmac_f32_e32 v215, 0x3f2c7751, v120
	s_delay_alu instid0(VALU_DEP_2) | instskip(SKIP_1) | instid1(VALU_DEP_1)
	v_add_f32_e32 v159, v161, v159
	v_fmamk_f32 v161, v85, 0x3dbcf732, v216
	v_dual_add_f32 v160, v161, v160 :: v_dual_fmamk_f32 v161, v84, 0xbf1a4643, v217
	s_delay_alu instid0(VALU_DEP_1) | instskip(SKIP_1) | instid1(VALU_DEP_1)
	v_add_f32_e32 v160, v161, v160
	v_fmamk_f32 v161, v89, 0x3f6eb680, v218
	v_dual_add_f32 v160, v161, v160 :: v_dual_fmamk_f32 v161, v88, 0xbf7ba420, v219
	s_delay_alu instid0(VALU_DEP_1) | instskip(SKIP_1) | instid1(VALU_DEP_1)
	v_add_f32_e32 v160, v161, v160
	v_mul_f32_e32 v220, 0x3f2c7751, v125
	v_fmamk_f32 v161, v81, 0x3f3d2fb0, v220
	s_delay_alu instid0(VALU_DEP_1) | instskip(SKIP_1) | instid1(VALU_DEP_2)
	v_dual_add_f32 v161, v161, v160 :: v_dual_fmamk_f32 v160, v119, 0x3f763a35, v221
	v_fmac_f32_e32 v221, 0xbf763a35, v119
	v_add_f32_e32 v160, v160, v159
	v_fmamk_f32 v159, v80, 0xbe8c1d8e, v222
	v_fmac_f32_e32 v209, 0xbf7ee86f, v91
	s_delay_alu instid0(VALU_DEP_2) | instskip(SKIP_1) | instid1(VALU_DEP_1)
	v_add_f32_e32 v159, v159, v161
	v_fmamk_f32 v161, v86, 0x3f4c4adb, v223
	v_add_f32_e32 v161, v102, v161
	s_delay_alu instid0(VALU_DEP_1) | instskip(NEXT) | instid1(VALU_DEP_1)
	v_dual_add_f32 v161, v162, v161 :: v_dual_fmamk_f32 v162, v91, 0x3eb8f4ab, v225
	v_add_f32_e32 v161, v162, v161
	v_fmamk_f32 v162, v90, 0x3f06c442, v226
	s_delay_alu instid0(VALU_DEP_1) | instskip(NEXT) | instid1(VALU_DEP_1)
	v_dual_add_f32 v161, v162, v161 :: v_dual_fmamk_f32 v162, v83, 0xbf7ee86f, v227
	v_add_f32_e32 v161, v162, v161
	v_fmamk_f32 v162, v82, 0x3f2c7751, v228
	s_delay_alu instid0(VALU_DEP_1) | instskip(SKIP_1) | instid1(VALU_DEP_1)
	v_dual_fmac_f32 v228, 0xbf2c7751, v82 :: v_dual_add_f32 v161, v162, v161
	v_fmamk_f32 v162, v87, 0xbf1a4643, v229
	v_add_f32_e32 v162, v101, v162
	s_delay_alu instid0(VALU_DEP_1) | instskip(SKIP_2) | instid1(VALU_DEP_2)
	v_add_f32_e32 v162, v231, v162
	v_mul_f32_e32 v231, 0xbf7ba420, v126
	v_mul_f32_e32 v126, 0xbe8c1d8e, v126
	v_fmamk_f32 v232, v120, 0x3e3c28d5, v231
	s_delay_alu instid0(VALU_DEP_1) | instskip(SKIP_2) | instid1(VALU_DEP_3)
	v_dual_add_f32 v161, v232, v161 :: v_dual_mul_f32 v232, 0xbeb8f4ab, v132
	v_mul_f32_e32 v132, 0xbf06c442, v132
	v_mul_f32_e32 v134, 0xbf59a7d5, v134
	v_fmamk_f32 v233, v85, 0x3f6eb680, v232
	s_delay_alu instid0(VALU_DEP_1) | instskip(SKIP_1) | instid1(VALU_DEP_2)
	v_dual_add_f32 v162, v233, v162 :: v_dual_mul_f32 v233, 0xbf06c442, v131
	v_mul_f32_e32 v131, 0x3f2c7751, v131
	v_fmamk_f32 v234, v84, 0xbf59a7d5, v233
	s_delay_alu instid0(VALU_DEP_1) | instskip(SKIP_3) | instid1(VALU_DEP_3)
	v_add_f32_e32 v162, v234, v162
	v_mul_f32_e32 v234, 0x3f7ee86f, v128
	v_mul_f32_e32 v128, 0xbf4c4adb, v128
	;; [unrolled: 1-line block ×3, first 2 shown]
	v_fmamk_f32 v235, v89, 0x3dbcf732, v234
	s_delay_alu instid0(VALU_DEP_1) | instskip(SKIP_1) | instid1(VALU_DEP_2)
	v_dual_add_f32 v162, v235, v162 :: v_dual_mul_f32 v235, 0xbf2c7751, v127
	v_mul_f32_e32 v127, 0x3f65296c, v127
	v_fmamk_f32 v236, v88, 0x3f3d2fb0, v235
	s_delay_alu instid0(VALU_DEP_1) | instskip(SKIP_2) | instid1(VALU_DEP_2)
	v_add_f32_e32 v162, v236, v162
	v_mul_f32_e32 v236, 0xbe3c28d5, v125
	v_mul_f32_e32 v125, 0xbf763a35, v125
	v_fmamk_f32 v237, v81, 0xbf7ba420, v236
	s_delay_alu instid0(VALU_DEP_1) | instskip(SKIP_1) | instid1(VALU_DEP_2)
	v_dual_add_f32 v237, v237, v162 :: v_dual_fmamk_f32 v162, v119, 0xbf65296c, v238
	v_fmac_f32_e32 v226, 0xbf06c442, v90
	v_dual_add_f32 v162, v162, v161 :: v_dual_fmamk_f32 v161, v80, 0x3ee437d1, v239
	v_fmac_f32_e32 v238, 0x3f65296c, v119
	v_fmac_f32_e32 v211, 0xbeb8f4ab, v83
	s_delay_alu instid0(VALU_DEP_3)
	v_add_f32_e32 v161, v161, v237
	ds_store_2addr_b64 v105, v[2:3], v[0:1] offset0:4 offset1:5
	ds_store_2addr_b64 v105, v[161:162], v[159:160] offset0:6 offset1:7
	v_mul_f32_e32 v2, 0xbf7ba420, v137
	v_mul_f32_e32 v3, 0x3f6eb680, v138
	;; [unrolled: 1-line block ×3, first 2 shown]
	v_fmamk_f32 v137, v73, 0x3f6eb680, v136
	s_delay_alu instid0(VALU_DEP_4) | instskip(NEXT) | instid1(VALU_DEP_4)
	v_fmamk_f32 v0, v86, 0x3e3c28d5, v2
	v_fmamk_f32 v1, v72, 0xbeb8f4ab, v3
	v_fmac_f32_e32 v2, 0xbe3c28d5, v86
	v_fmac_f32_e32 v3, 0x3eb8f4ab, v72
	v_fma_f32 v72, 0x3f3d2fb0, v73, -v95
	v_add_f32_e32 v0, v102, v0
	s_delay_alu instid0(VALU_DEP_4) | instskip(NEXT) | instid1(VALU_DEP_2)
	v_add_f32_e32 v2, v102, v2
	v_dual_add_f32 v0, v1, v0 :: v_dual_fmamk_f32 v1, v91, 0x3f06c442, v134
	s_delay_alu instid0(VALU_DEP_2) | instskip(SKIP_2) | instid1(VALU_DEP_4)
	v_add_f32_e32 v2, v3, v2
	v_fma_f32 v3, 0xbf7ba420, v87, -v135
	v_mul_f32_e32 v124, 0x3f7ee86f, v124
	v_dual_add_f32 v0, v1, v0 :: v_dual_fmamk_f32 v1, v90, 0xbf2c7751, v133
	s_delay_alu instid0(VALU_DEP_3) | instskip(SKIP_2) | instid1(VALU_DEP_4)
	v_add_f32_e32 v3, v101, v3
	v_mul_f32_e32 v123, 0x3dbcf732, v123
	v_fmac_f32_e32 v133, 0x3f2c7751, v90
	v_dual_fmac_f32 v223, 0xbf4c4adb, v86 :: v_dual_add_f32 v0, v1, v0
	v_fmamk_f32 v1, v83, 0x3f4c4adb, v130
	v_fma_f32 v86, 0x3f3d2fb0, v87, -v166
	s_delay_alu instid0(VALU_DEP_2) | instskip(SKIP_1) | instid1(VALU_DEP_3)
	v_dual_add_f32 v0, v1, v0 :: v_dual_fmamk_f32 v1, v82, 0xbf65296c, v129
	v_fmac_f32_e32 v129, 0x3f65296c, v82
	v_dual_fmac_f32 v225, 0xbeb8f4ab, v91 :: v_dual_add_f32 v86, v101, v86
	s_delay_alu instid0(VALU_DEP_3) | instskip(SKIP_2) | instid1(VALU_DEP_2)
	v_dual_fmac_f32 v179, 0xbe3c28d5, v83 :: v_dual_add_f32 v0, v1, v0
	v_fmamk_f32 v1, v87, 0xbf7ba420, v135
	v_fmac_f32_e32 v227, 0x3f7ee86f, v83
	v_add_f32_e32 v1, v101, v1
	s_delay_alu instid0(VALU_DEP_1) | instskip(SKIP_3) | instid1(VALU_DEP_3)
	v_add_f32_e32 v1, v137, v1
	v_fmamk_f32 v137, v85, 0xbf59a7d5, v132
	v_fmac_f32_e32 v134, 0xbf06c442, v91
	v_fma_f32 v132, 0xbf59a7d5, v85, -v132
	v_add_f32_e32 v1, v137, v1
	v_fmamk_f32 v137, v120, 0x3f763a35, v126
	v_fmac_f32_e32 v126, 0xbf763a35, v120
	v_add_f32_e32 v2, v134, v2
	s_delay_alu instid0(VALU_DEP_3) | instskip(NEXT) | instid1(VALU_DEP_2)
	v_dual_add_f32 v0, v137, v0 :: v_dual_fmamk_f32 v137, v84, 0x3f3d2fb0, v131
	v_add_f32_e32 v2, v133, v2
	v_fma_f32 v133, 0xbf1a4643, v73, -v155
	s_delay_alu instid0(VALU_DEP_3) | instskip(SKIP_1) | instid1(VALU_DEP_1)
	v_add_f32_e32 v1, v137, v1
	v_fmamk_f32 v137, v89, 0xbf1a4643, v128
	v_add_f32_e32 v1, v137, v1
	v_fmamk_f32 v137, v88, 0x3ee437d1, v127
	s_delay_alu instid0(VALU_DEP_1) | instskip(SKIP_3) | instid1(VALU_DEP_3)
	v_add_f32_e32 v1, v137, v1
	v_fmamk_f32 v137, v81, 0xbe8c1d8e, v125
	v_fma_f32 v134, 0x3f6eb680, v73, -v136
	v_fma_f32 v125, 0xbe8c1d8e, v81, -v125
	v_add_f32_e32 v137, v137, v1
	v_fmamk_f32 v1, v119, 0xbf7ee86f, v123
	s_delay_alu instid0(VALU_DEP_4) | instskip(SKIP_2) | instid1(VALU_DEP_4)
	v_add_f32_e32 v3, v134, v3
	v_fma_f32 v128, 0xbf1a4643, v89, -v128
	v_fma_f32 v134, 0xbf59a7d5, v80, -v165
	v_dual_fmac_f32 v152, 0xbf06c442, v119 :: v_dual_add_f32 v1, v1, v0
	v_fmamk_f32 v0, v80, 0x3dbcf732, v124
	v_fmac_f32_e32 v123, 0x3f7ee86f, v119
	v_fmac_f32_e32 v130, 0xbf4c4adb, v83
	v_add_f32_e32 v3, v132, v3
	v_fma_f32 v124, 0x3dbcf732, v80, -v124
	v_dual_add_f32 v0, v0, v137 :: v_dual_fmac_f32 v231, 0xbe3c28d5, v120
	s_delay_alu instid0(VALU_DEP_4) | instskip(SKIP_3) | instid1(VALU_DEP_3)
	v_add_f32_e32 v2, v130, v2
	v_fma_f32 v130, 0x3f3d2fb0, v84, -v131
	v_fma_f32 v131, 0xbf7ba420, v73, -v198
	;; [unrolled: 1-line block ×3, first 2 shown]
	v_dual_add_f32 v2, v129, v2 :: v_dual_add_f32 v3, v130, v3
	v_fma_f32 v129, 0xbf59a7d5, v73, -v182
	v_fma_f32 v130, 0xbf1a4643, v80, -v190
	s_delay_alu instid0(VALU_DEP_3) | instskip(SKIP_3) | instid1(VALU_DEP_3)
	v_dual_add_f32 v2, v126, v2 :: v_dual_add_f32 v3, v128, v3
	v_fma_f32 v126, 0x3ee437d1, v88, -v127
	v_fma_f32 v127, 0xbe8c1d8e, v73, -v230
	;; [unrolled: 1-line block ×3, first 2 shown]
	v_add_f32_e32 v3, v126, v3
	v_fma_f32 v126, 0xbe8c1d8e, v80, -v222
	s_delay_alu instid0(VALU_DEP_2) | instskip(SKIP_1) | instid1(VALU_DEP_2)
	v_add_f32_e32 v125, v125, v3
	v_add_f32_e32 v3, v123, v2
	v_dual_add_f32 v123, v102, v207 :: v_dual_add_f32 v2, v124, v125
	v_fma_f32 v124, 0xbf59a7d5, v87, -v213
	v_fma_f32 v125, 0x3ee437d1, v73, -v214
	s_delay_alu instid0(VALU_DEP_2) | instskip(NEXT) | instid1(VALU_DEP_1)
	v_dual_add_f32 v123, v208, v123 :: v_dual_add_f32 v124, v101, v124
	v_add_f32_e32 v123, v209, v123
	s_delay_alu instid0(VALU_DEP_2) | instskip(SKIP_1) | instid1(VALU_DEP_1)
	v_add_f32_e32 v124, v125, v124
	v_fma_f32 v125, 0x3dbcf732, v85, -v216
	v_dual_add_f32 v123, v210, v123 :: v_dual_add_f32 v124, v125, v124
	v_fma_f32 v125, 0xbf1a4643, v84, -v217
	s_delay_alu instid0(VALU_DEP_1) | instskip(SKIP_1) | instid1(VALU_DEP_1)
	v_dual_add_f32 v123, v211, v123 :: v_dual_add_f32 v124, v125, v124
	v_fma_f32 v125, 0x3f6eb680, v89, -v218
	v_dual_add_f32 v123, v212, v123 :: v_dual_add_f32 v124, v125, v124
	v_fma_f32 v125, 0xbf7ba420, v88, -v219
	s_delay_alu instid0(VALU_DEP_1) | instskip(SKIP_1) | instid1(VALU_DEP_1)
	v_dual_add_f32 v123, v215, v123 :: v_dual_add_f32 v124, v125, v124
	v_fma_f32 v125, 0x3f3d2fb0, v81, -v220
	v_add_f32_e32 v125, v125, v124
	s_delay_alu instid0(VALU_DEP_1) | instskip(SKIP_1) | instid1(VALU_DEP_1)
	v_dual_add_f32 v124, v221, v123 :: v_dual_add_f32 v123, v126, v125
	v_fma_f32 v126, 0xbf1a4643, v87, -v229
	v_dual_add_f32 v125, v102, v223 :: v_dual_add_f32 v126, v101, v126
	s_delay_alu instid0(VALU_DEP_1) | instskip(SKIP_1) | instid1(VALU_DEP_1)
	v_dual_add_f32 v125, v224, v125 :: v_dual_add_f32 v126, v127, v126
	v_fma_f32 v127, 0x3f6eb680, v85, -v232
	v_dual_add_f32 v125, v225, v125 :: v_dual_add_f32 v126, v127, v126
	v_fma_f32 v127, 0xbf59a7d5, v84, -v233
	s_delay_alu instid0(VALU_DEP_1) | instskip(SKIP_1) | instid1(VALU_DEP_2)
	v_dual_add_f32 v125, v226, v125 :: v_dual_add_f32 v126, v127, v126
	v_fma_f32 v127, 0x3dbcf732, v89, -v234
	v_add_f32_e32 v125, v227, v125
	s_delay_alu instid0(VALU_DEP_2) | instskip(SKIP_1) | instid1(VALU_DEP_1)
	v_add_f32_e32 v126, v127, v126
	v_fma_f32 v127, 0x3f3d2fb0, v88, -v235
	v_dual_add_f32 v125, v228, v125 :: v_dual_add_f32 v126, v127, v126
	v_fma_f32 v127, 0xbf7ba420, v81, -v236
	s_delay_alu instid0(VALU_DEP_2) | instskip(NEXT) | instid1(VALU_DEP_1)
	v_add_f32_e32 v125, v231, v125
	v_dual_add_f32 v127, v127, v126 :: v_dual_add_f32 v126, v238, v125
	s_delay_alu instid0(VALU_DEP_1) | instskip(SKIP_1) | instid1(VALU_DEP_1)
	v_add_f32_e32 v125, v128, v127
	v_fma_f32 v128, 0xbe8c1d8e, v87, -v181
	v_dual_add_f32 v127, v102, v173 :: v_dual_add_f32 v128, v101, v128
	s_delay_alu instid0(VALU_DEP_1) | instskip(SKIP_1) | instid1(VALU_DEP_2)
	v_dual_add_f32 v127, v176, v127 :: v_dual_add_f32 v128, v129, v128
	v_fma_f32 v129, 0x3f3d2fb0, v85, -v184
	v_add_f32_e32 v127, v177, v127
	s_delay_alu instid0(VALU_DEP_2) | instskip(SKIP_1) | instid1(VALU_DEP_1)
	v_add_f32_e32 v128, v129, v128
	v_fma_f32 v129, 0x3ee437d1, v84, -v185
	v_dual_add_f32 v127, v178, v127 :: v_dual_add_f32 v128, v129, v128
	v_fma_f32 v129, 0xbf7ba420, v89, -v186
	s_delay_alu instid0(VALU_DEP_1) | instskip(SKIP_1) | instid1(VALU_DEP_1)
	v_dual_add_f32 v127, v179, v127 :: v_dual_add_f32 v128, v129, v128
	v_fma_f32 v129, 0x3dbcf732, v88, -v187
	v_dual_add_f32 v127, v180, v127 :: v_dual_add_f32 v128, v129, v128
	v_fma_f32 v129, 0x3f6eb680, v81, -v188
	s_delay_alu instid0(VALU_DEP_2) | instskip(NEXT) | instid1(VALU_DEP_2)
	v_add_f32_e32 v127, v183, v127
	v_add_f32_e32 v129, v129, v128
	s_delay_alu instid0(VALU_DEP_1) | instskip(SKIP_1) | instid1(VALU_DEP_1)
	v_dual_add_f32 v128, v189, v127 :: v_dual_add_f32 v127, v130, v129
	v_fma_f32 v130, 0x3dbcf732, v87, -v197
	v_dual_add_f32 v129, v102, v191 :: v_dual_add_f32 v130, v101, v130
	s_delay_alu instid0(VALU_DEP_1) | instskip(SKIP_1) | instid1(VALU_DEP_1)
	v_dual_add_f32 v129, v192, v129 :: v_dual_add_f32 v130, v131, v130
	v_fma_f32 v131, 0xbe8c1d8e, v85, -v200
	v_dual_add_f32 v129, v193, v129 :: v_dual_add_f32 v130, v131, v130
	v_fma_f32 v131, 0x3f6eb680, v84, -v201
	s_delay_alu instid0(VALU_DEP_1) | instskip(SKIP_1) | instid1(VALU_DEP_2)
	v_dual_add_f32 v129, v194, v129 :: v_dual_add_f32 v130, v131, v130
	v_fma_f32 v131, 0x3ee437d1, v89, -v202
	v_add_f32_e32 v129, v195, v129
	s_delay_alu instid0(VALU_DEP_2) | instskip(SKIP_1) | instid1(VALU_DEP_1)
	v_add_f32_e32 v130, v131, v130
	v_fma_f32 v131, 0xbf59a7d5, v88, -v203
	v_dual_add_f32 v129, v196, v129 :: v_dual_add_f32 v130, v131, v130
	v_fma_f32 v131, 0xbf1a4643, v81, -v204
	s_delay_alu instid0(VALU_DEP_2) | instskip(NEXT) | instid1(VALU_DEP_1)
	v_add_f32_e32 v129, v199, v129
	v_dual_add_f32 v131, v131, v130 :: v_dual_add_f32 v130, v205, v129
	s_delay_alu instid0(VALU_DEP_1)
	v_add_f32_e32 v129, v132, v131
	v_fma_f32 v132, 0x3ee437d1, v87, -v150
	v_fma_f32 v87, 0x3f6eb680, v87, -v122
	v_add_f32_e32 v131, v102, v142
	v_add_f32_e32 v122, v102, v153
	;; [unrolled: 1-line block ×4, first 2 shown]
	v_fma_f32 v121, 0x3dbcf732, v73, -v167
	v_add_f32_e32 v101, v101, v87
	v_add_f32_e32 v131, v143, v131
	s_delay_alu instid0(VALU_DEP_4)
	v_dual_add_f32 v87, v146, v122 :: v_dual_add_f32 v132, v133, v132
	v_fma_f32 v133, 0xbf7ba420, v85, -v163
	v_add_f32_e32 v86, v121, v86
	v_fma_f32 v121, 0xbf1a4643, v85, -v168
	v_dual_add_f32 v73, v78, v102 :: v_dual_add_f32 v72, v72, v101
	v_fma_f32 v78, 0x3ee437d1, v85, -v99
	v_dual_add_f32 v131, v144, v131 :: v_dual_add_f32 v132, v133, v132
	;; [unrolled: 2-line block ×4, first 2 shown]
	v_fma_f32 v77, 0x3dbcf732, v84, -v98
	v_add_f32_e32 v131, v141, v131
	v_add_f32_e32 v132, v133, v132
	v_fma_f32 v133, 0x3f3d2fb0, v89, -v156
	v_dual_add_f32 v87, v154, v87 :: v_dual_add_f32 v86, v121, v86
	v_fma_f32 v121, 0xbf59a7d5, v89, -v170
	v_dual_add_f32 v73, v76, v73 :: v_dual_add_f32 v72, v77, v72
	;; [unrolled: 2-line block ×3, first 2 shown]
	v_fma_f32 v133, 0x3f6eb680, v88, -v151
	v_add_f32_e32 v87, v149, v87
	v_add_f32_e32 v86, v121, v86
	v_fma_f32 v121, 0xbe8c1d8e, v88, -v171
	v_dual_add_f32 v73, v75, v73 :: v_dual_add_f32 v72, v76, v72
	v_fma_f32 v75, 0xbf1a4643, v88, -v94
	v_dual_add_f32 v131, v139, v131 :: v_dual_add_f32 v132, v133, v132
	;; [unrolled: 2-line block ×4, first 2 shown]
	v_fma_f32 v74, 0xbf59a7d5, v81, -v93
	v_add_f32_e32 v131, v145, v131
	v_add_f32_e32 v133, v133, v132
	v_dual_add_f32 v87, v158, v87 :: v_dual_add_f32 v86, v121, v86
	v_fma_f32 v121, 0x3f6eb680, v80, -v175
	v_dual_add_f32 v73, v79, v73 :: v_dual_add_f32 v72, v74, v72
	v_fma_f32 v74, 0xbf7ba420, v80, -v97
	v_dual_add_f32 v132, v152, v131 :: v_dual_add_f32 v131, v134, v133
	s_delay_alu instid0(VALU_DEP_4) | instskip(NEXT) | instid1(VALU_DEP_3)
	v_dual_add_f32 v87, v174, v87 :: v_dual_add_f32 v86, v121, v86
	v_dual_add_f32 v72, v74, v72 :: v_dual_add_f32 v73, v92, v73
	ds_store_2addr_b64 v105, v[0:1], v[2:3] offset0:8 offset1:9
	ds_store_2addr_b64 v105, v[123:124], v[125:126] offset0:10 offset1:11
	;; [unrolled: 1-line block ×4, first 2 shown]
	ds_store_b64 v105, v[72:73] offset:128
.LBB0_13:
	s_or_b32 exec_lo, exec_lo, s0
	v_add_nc_u32_e32 v0, 0x800, v106
	v_add_nc_u32_e32 v1, 0x1800, v106
	;; [unrolled: 1-line block ×3, first 2 shown]
	s_waitcnt lgkmcnt(0)
	s_barrier
	buffer_gl0_inv
	ds_load_2addr_b64 v[73:76], v0 offset0:84 offset1:169
	ds_load_2addr_b64 v[77:80], v1 offset0:82 offset1:167
	;; [unrolled: 1-line block ×3, first 2 shown]
	v_add_nc_u32_e32 v3, 0x1c00, v106
	s_waitcnt lgkmcnt(2)
	v_dual_mul_f32 v99, v17, v76 :: v_dual_add_nc_u32 v72, 0x1000, v106
	s_waitcnt lgkmcnt(1)
	v_mul_f32_e32 v101, v19, v78
	v_mul_f32_e32 v19, v19, v77
	ds_load_2addr_b64 v[85:88], v106 offset1:85
	ds_load_2addr_b64 v[89:92], v106 offset0:170 offset1:255
	ds_load_b64 v[97:98], v106 offset:9520
	ds_load_2addr_b64 v[93:96], v3 offset0:124 offset1:209
	ds_load_2addr_b64 v[119:122], v72 offset0:168 offset1:253
	v_mul_f32_e32 v17, v17, v75
	s_waitcnt lgkmcnt(5)
	v_dual_mul_f32 v102, v21, v82 :: v_dual_mul_f32 v105, v23, v80
	v_mul_f32_e32 v21, v21, v81
	v_fmac_f32_e32 v99, v16, v75
	v_fma_f32 v16, v16, v76, -v17
	v_fmac_f32_e32 v101, v18, v77
	v_mul_f32_e32 v23, v23, v79
	v_fma_f32 v17, v18, v78, -v19
	v_fmac_f32_e32 v102, v20, v81
	v_fma_f32 v18, v20, v82, -v21
	s_waitcnt lgkmcnt(0)
	v_fma_f32 v19, v22, v80, -v23
	s_barrier
	buffer_gl0_inv
	v_mul_f32_e32 v20, v15, v94
	v_mul_f32_e32 v75, v11, v96
	;; [unrolled: 1-line block ×5, first 2 shown]
	v_fmac_f32_e32 v20, v14, v93
	v_fmac_f32_e32 v75, v10, v95
	v_fma_f32 v78, v10, v96, -v11
	v_add_f32_e32 v10, v86, v16
	v_dual_fmac_f32 v105, v22, v79 :: v_dual_mul_f32 v22, v9, v120
	v_mul_f32_e32 v123, v13, v84
	v_mul_f32_e32 v9, v9, v119
	;; [unrolled: 1-line block ×3, first 2 shown]
	v_fmac_f32_e32 v77, v4, v121
	v_fmac_f32_e32 v22, v8, v119
	v_fma_f32 v80, v4, v122, -v5
	v_fma_f32 v76, v8, v120, -v9
	v_dual_add_f32 v4, v99, v101 :: v_dual_fmac_f32 v123, v12, v83
	v_mul_f32_e32 v79, v7, v98
	v_mul_f32_e32 v7, v7, v97
	v_fma_f32 v23, v14, v94, -v15
	v_add_f32_e32 v5, v85, v99
	v_fma_f32 v4, -0.5, v4, v85
	v_dual_sub_f32 v15, v102, v105 :: v_dual_add_f32 v82, v76, v78
	v_fma_f32 v81, v6, v98, -v7
	v_add_f32_e32 v7, v16, v17
	v_sub_f32_e32 v9, v16, v17
	v_fmac_f32_e32 v79, v6, v97
	v_dual_mul_f32 v13, v13, v83 :: v_dual_add_f32 v14, v88, v18
	s_delay_alu instid0(VALU_DEP_3)
	v_fmamk_f32 v8, v9, 0xbf5db3d7, v4
	v_fmac_f32_e32 v4, 0x3f5db3d7, v9
	v_add_f32_e32 v6, v5, v101
	v_fma_f32 v5, -0.5, v7, v86
	v_sub_f32_e32 v11, v99, v101
	v_fma_f32 v21, v12, v84, -v13
	v_add_f32_e32 v7, v10, v17
	v_add_f32_e32 v10, v102, v105
	;; [unrolled: 1-line block ×3, first 2 shown]
	v_fmamk_f32 v9, v11, 0x3f5db3d7, v5
	v_fmac_f32_e32 v5, 0xbf5db3d7, v11
	v_add_f32_e32 v11, v18, v19
	v_fma_f32 v87, -0.5, v10, v87
	v_sub_f32_e32 v13, v18, v19
	v_add_f32_e32 v16, v89, v123
	v_sub_f32_e32 v17, v21, v23
	v_fmac_f32_e32 v88, -0.5, v11
	v_dual_add_f32 v11, v14, v19 :: v_dual_add_f32 v14, v123, v20
	v_add_f32_e32 v10, v12, v105
	v_fmamk_f32 v12, v13, 0xbf5db3d7, v87
	v_dual_fmac_f32 v87, 0x3f5db3d7, v13 :: v_dual_add_f32 v16, v16, v20
	s_delay_alu instid0(VALU_DEP_4) | instskip(SKIP_1) | instid1(VALU_DEP_2)
	v_fma_f32 v14, -0.5, v14, v89
	v_dual_add_f32 v19, v90, v21 :: v_dual_sub_f32 v20, v123, v20
	v_fmamk_f32 v18, v17, 0xbf5db3d7, v14
	v_fmamk_f32 v13, v15, 0x3f5db3d7, v88
	v_fmac_f32_e32 v88, 0xbf5db3d7, v15
	v_dual_add_f32 v15, v21, v23 :: v_dual_fmac_f32 v14, 0x3f5db3d7, v17
	v_add_f32_e32 v17, v19, v23
	v_add_f32_e32 v21, v22, v75
	;; [unrolled: 1-line block ×3, first 2 shown]
	s_delay_alu instid0(VALU_DEP_4) | instskip(NEXT) | instid1(VALU_DEP_3)
	v_fma_f32 v15, -0.5, v15, v90
	v_fma_f32 v91, -0.5, v21, v91
	v_sub_f32_e32 v21, v76, v78
	s_delay_alu instid0(VALU_DEP_3) | instskip(SKIP_2) | instid1(VALU_DEP_4)
	v_fmamk_f32 v19, v20, 0x3f5db3d7, v15
	v_dual_fmac_f32 v15, 0xbf5db3d7, v20 :: v_dual_add_f32 v20, v23, v75
	v_dual_add_f32 v23, v92, v76 :: v_dual_fmac_f32 v92, -0.5, v82
	v_dual_sub_f32 v75, v22, v75 :: v_dual_fmamk_f32 v22, v21, 0xbf5db3d7, v91
	v_fmac_f32_e32 v91, 0x3f5db3d7, v21
	s_delay_alu instid0(VALU_DEP_3) | instskip(NEXT) | instid1(VALU_DEP_3)
	v_dual_add_f32 v21, v23, v78 :: v_dual_add_f32 v76, v77, v79
	v_fmamk_f32 v23, v75, 0x3f5db3d7, v92
	v_dual_fmac_f32 v92, 0xbf5db3d7, v75 :: v_dual_add_f32 v75, v80, v81
	v_add_f32_e32 v78, v73, v77
	s_delay_alu instid0(VALU_DEP_4)
	v_fma_f32 v73, -0.5, v76, v73
	v_sub_f32_e32 v76, v80, v81
	v_add_f32_e32 v80, v74, v80
	v_fmac_f32_e32 v74, -0.5, v75
	v_sub_f32_e32 v82, v77, v79
	v_add_f32_e32 v75, v78, v79
	v_fmamk_f32 v77, v76, 0xbf5db3d7, v73
	v_dual_fmac_f32 v73, 0x3f5db3d7, v76 :: v_dual_add_f32 v76, v80, v81
	s_delay_alu instid0(VALU_DEP_4)
	v_fmamk_f32 v78, v82, 0x3f5db3d7, v74
	v_fmac_f32_e32 v74, 0xbf5db3d7, v82
	ds_store_2addr_b64 v115, v[6:7], v[8:9] offset1:17
	ds_store_b64 v115, v[4:5] offset:272
	ds_store_2addr_b64 v113, v[10:11], v[12:13] offset1:17
	ds_store_b64 v113, v[87:88] offset:272
	;; [unrolled: 2-line block ×5, first 2 shown]
	s_waitcnt lgkmcnt(0)
	s_barrier
	buffer_gl0_inv
	ds_load_2addr_b64 v[4:7], v106 offset0:170 offset1:255
	ds_load_2addr_b64 v[8:11], v2 offset0:126 offset1:211
	;; [unrolled: 1-line block ×5, first 2 shown]
	ds_load_2addr_b64 v[73:76], v106 offset1:85
	ds_load_2addr_b64 v[77:80], v1 offset0:82 offset1:167
	ds_load_b64 v[81:82], v106 offset:9520
	s_waitcnt lgkmcnt(0)
	s_barrier
	buffer_gl0_inv
	v_mul_f32_e32 v83, v45, v7
	v_dual_mul_f32 v45, v45, v6 :: v_dual_mul_f32 v84, v47, v9
	v_mul_f32_e32 v47, v47, v8
	v_mul_f32_e32 v85, v41, v15
	s_delay_alu instid0(VALU_DEP_4) | instskip(NEXT) | instid1(VALU_DEP_4)
	v_fmac_f32_e32 v83, v44, v6
	v_fma_f32 v44, v44, v7, -v45
	v_fmac_f32_e32 v84, v46, v8
	v_fma_f32 v45, v46, v9, -v47
	v_dual_mul_f32 v6, v41, v14 :: v_dual_mul_f32 v9, v43, v17
	v_mul_f32_e32 v7, v43, v16
	v_mul_f32_e32 v41, v37, v21
	;; [unrolled: 1-line block ×3, first 2 shown]
	s_delay_alu instid0(VALU_DEP_4)
	v_fma_f32 v37, v40, v15, -v6
	v_fmac_f32_e32 v9, v42, v16
	v_fma_f32 v16, v42, v17, -v7
	v_fmac_f32_e32 v41, v36, v20
	v_fma_f32 v36, v36, v21, -v8
	v_mul_f32_e32 v21, v39, v11
	v_mul_f32_e32 v6, v39, v10
	v_dual_mul_f32 v39, v33, v78 :: v_dual_sub_f32 v20, v16, v37
	v_mul_f32_e32 v7, v33, v77
	v_fmac_f32_e32 v85, v40, v14
	v_mul_f32_e32 v33, v35, v19
	v_fmac_f32_e32 v21, v38, v10
	v_fma_f32 v38, v38, v11, -v6
	v_fmac_f32_e32 v39, v32, v77
	v_fma_f32 v32, v32, v78, -v7
	v_dual_mul_f32 v6, v35, v18 :: v_dual_mul_f32 v35, v29, v23
	v_mul_f32_e32 v7, v29, v22
	v_mul_f32_e32 v29, v31, v13
	v_dual_fmac_f32 v33, v34, v18 :: v_dual_mul_f32 v8, v31, v12
	v_sub_f32_e32 v10, v83, v84
	s_delay_alu instid0(VALU_DEP_3)
	v_dual_add_f32 v14, v83, v9 :: v_dual_fmac_f32 v29, v30, v12
	v_add_f32_e32 v18, v74, v44
	v_sub_f32_e32 v12, v9, v85
	v_fma_f32 v31, v34, v19, -v6
	v_fma_f32 v40, v30, v13, -v8
	v_add_f32_e32 v6, v84, v85
	v_sub_f32_e32 v13, v45, v37
	v_add_f32_e32 v17, v10, v12
	v_fma_f32 v10, -0.5, v14, v73
	v_fma_f32 v34, v28, v23, -v7
	v_mul_f32_e32 v7, v25, v79
	v_fma_f32 v6, -0.5, v6, v73
	s_delay_alu instid0(VALU_DEP_4) | instskip(SKIP_4) | instid1(VALU_DEP_4)
	v_dual_sub_f32 v11, v44, v16 :: v_dual_fmamk_f32 v14, v13, 0x3f737871, v10
	v_add_f32_e32 v8, v73, v83
	v_mul_f32_e32 v42, v25, v80
	v_fma_f32 v46, v24, v80, -v7
	v_mul_f32_e32 v15, v27, v81
	v_dual_fmac_f32 v10, 0xbf737871, v13 :: v_dual_add_f32 v7, v8, v84
	v_fmamk_f32 v8, v11, 0xbf737871, v6
	v_fmac_f32_e32 v6, 0x3f737871, v11
	v_fmac_f32_e32 v42, v24, v79
	s_delay_alu instid0(VALU_DEP_4) | instskip(NEXT) | instid1(VALU_DEP_4)
	v_dual_sub_f32 v24, v36, v31 :: v_dual_add_f32 v7, v7, v85
	v_fmac_f32_e32 v8, 0xbf167918, v13
	s_delay_alu instid0(VALU_DEP_4) | instskip(SKIP_3) | instid1(VALU_DEP_4)
	v_fmac_f32_e32 v6, 0x3f167918, v13
	v_dual_add_f32 v13, v18, v45 :: v_dual_sub_f32 v30, v31, v32
	v_fma_f32 v47, v26, v82, -v15
	v_add_f32_e32 v19, v45, v37
	v_fmac_f32_e32 v6, 0x3e9e377a, v17
	v_dual_add_f32 v12, v7, v9 :: v_dual_sub_f32 v7, v84, v83
	v_sub_f32_e32 v15, v85, v9
	v_add_f32_e32 v13, v13, v37
	v_sub_f32_e32 v18, v44, v45
	v_fmac_f32_e32 v14, 0xbf167918, v11
	v_fmac_f32_e32 v10, 0x3f167918, v11
	v_add_f32_e32 v15, v7, v15
	v_fma_f32 v7, -0.5, v19, v74
	v_sub_f32_e32 v19, v83, v9
	v_add_f32_e32 v11, v44, v16
	v_add_f32_e32 v13, v13, v16
	v_add_f32_e32 v18, v18, v20
	v_sub_f32_e32 v20, v45, v44
	v_sub_f32_e32 v16, v37, v16
	v_fmac_f32_e32 v8, 0x3e9e377a, v17
	v_fmamk_f32 v9, v19, 0x3f737871, v7
	v_sub_f32_e32 v17, v84, v85
	s_delay_alu instid0(VALU_DEP_4) | instskip(SKIP_2) | instid1(VALU_DEP_4)
	v_dual_fmac_f32 v7, 0xbf737871, v19 :: v_dual_add_f32 v20, v20, v16
	v_dual_fmac_f32 v35, v28, v22 :: v_dual_add_f32 v22, v21, v39
	v_fma_f32 v11, -0.5, v11, v74
	v_fmac_f32_e32 v9, 0x3f167918, v17
	s_delay_alu instid0(VALU_DEP_4) | instskip(SKIP_2) | instid1(VALU_DEP_4)
	v_fmac_f32_e32 v7, 0xbf167918, v17
	v_add_f32_e32 v23, v75, v41
	v_fma_f32 v16, -0.5, v22, v75
	v_dual_sub_f32 v22, v41, v21 :: v_dual_fmac_f32 v9, 0x3e9e377a, v18
	s_delay_alu instid0(VALU_DEP_4) | instskip(NEXT) | instid1(VALU_DEP_3)
	v_fmac_f32_e32 v7, 0x3e9e377a, v18
	v_dual_sub_f32 v25, v33, v39 :: v_dual_fmamk_f32 v18, v24, 0xbf737871, v16
	v_sub_f32_e32 v28, v36, v38
	v_fmac_f32_e32 v14, 0x3e9e377a, v15
	v_fmac_f32_e32 v10, 0x3e9e377a, v15
	v_fmamk_f32 v15, v17, 0xbf737871, v11
	v_fmac_f32_e32 v11, 0x3f737871, v17
	v_add_f32_e32 v17, v23, v21
	v_sub_f32_e32 v23, v38, v32
	v_mul_f32_e32 v43, v27, v82
	v_fmac_f32_e32 v15, 0x3f167918, v19
	v_fmac_f32_e32 v11, 0xbf167918, v19
	s_delay_alu instid0(VALU_DEP_4) | instskip(NEXT) | instid1(VALU_DEP_4)
	v_dual_add_f32 v19, v22, v25 :: v_dual_fmac_f32 v18, 0xbf167918, v23
	v_fmac_f32_e32 v43, v26, v81
	v_add_f32_e32 v26, v41, v33
	v_add_f32_e32 v17, v17, v39
	s_delay_alu instid0(VALU_DEP_4) | instskip(SKIP_1) | instid1(VALU_DEP_4)
	v_dual_fmac_f32 v11, 0x3e9e377a, v20 :: v_dual_fmac_f32 v18, 0x3e9e377a, v19
	v_fmac_f32_e32 v15, 0x3e9e377a, v20
	v_fma_f32 v75, -0.5, v26, v75
	s_delay_alu instid0(VALU_DEP_4) | instskip(SKIP_2) | instid1(VALU_DEP_4)
	v_add_f32_e32 v20, v17, v33
	v_sub_f32_e32 v17, v21, v41
	v_dual_sub_f32 v25, v39, v33 :: v_dual_fmac_f32 v16, 0x3f737871, v24
	v_fmamk_f32 v22, v23, 0x3f737871, v75
	v_dual_fmac_f32 v75, 0xbf737871, v23 :: v_dual_add_f32 v26, v76, v36
	v_add_f32_e32 v27, v38, v32
	s_delay_alu instid0(VALU_DEP_3) | instskip(SKIP_1) | instid1(VALU_DEP_4)
	v_dual_add_f32 v25, v17, v25 :: v_dual_fmac_f32 v22, 0xbf167918, v24
	v_sub_f32_e32 v37, v46, v47
	v_dual_fmac_f32 v75, 0x3f167918, v24 :: v_dual_add_f32 v24, v36, v31
	v_dual_fmac_f32 v16, 0x3f167918, v23 :: v_dual_add_f32 v23, v26, v38
	v_fma_f32 v17, -0.5, v27, v76
	v_fmac_f32_e32 v22, 0x3e9e377a, v25
	s_delay_alu instid0(VALU_DEP_4)
	v_dual_fmac_f32 v75, 0x3e9e377a, v25 :: v_dual_fmac_f32 v76, -0.5, v24
	v_dual_add_f32 v25, v28, v30 :: v_dual_sub_f32 v24, v38, v36
	v_sub_f32_e32 v28, v32, v31
	v_add_f32_e32 v30, v29, v42
	v_dual_sub_f32 v26, v41, v33 :: v_dual_add_f32 v23, v23, v32
	v_sub_f32_e32 v32, v43, v42
	s_delay_alu instid0(VALU_DEP_4) | instskip(NEXT) | instid1(VALU_DEP_4)
	v_add_f32_e32 v28, v24, v28
	v_fma_f32 v24, -0.5, v30, v4
	v_dual_sub_f32 v30, v35, v29 :: v_dual_sub_f32 v27, v21, v39
	v_add_f32_e32 v21, v23, v31
	v_sub_f32_e32 v31, v34, v47
	s_delay_alu instid0(VALU_DEP_3)
	v_dual_add_f32 v33, v35, v43 :: v_dual_add_f32 v30, v30, v32
	v_sub_f32_e32 v32, v29, v35
	v_fmac_f32_e32 v16, 0x3e9e377a, v19
	v_fmamk_f32 v19, v26, 0x3f737871, v17
	v_fmac_f32_e32 v17, 0xbf737871, v26
	v_fmamk_f32 v23, v27, 0xbf737871, v76
	v_fmac_f32_e32 v76, 0x3f737871, v27
	s_delay_alu instid0(VALU_DEP_4) | instskip(NEXT) | instid1(VALU_DEP_4)
	v_dual_sub_f32 v36, v47, v46 :: v_dual_fmac_f32 v19, 0x3f167918, v27
	v_fmac_f32_e32 v17, 0xbf167918, v27
	v_add_f32_e32 v27, v4, v35
	v_fmac_f32_e32 v23, 0x3f167918, v26
	v_fmac_f32_e32 v76, 0xbf167918, v26
	;; [unrolled: 1-line block ×4, first 2 shown]
	v_add_f32_e32 v25, v27, v29
	v_dual_fmamk_f32 v26, v31, 0xbf737871, v24 :: v_dual_sub_f32 v27, v40, v46
	v_fmac_f32_e32 v24, 0x3f737871, v31
	v_fma_f32 v4, -0.5, v33, v4
	s_delay_alu instid0(VALU_DEP_4)
	v_add_f32_e32 v25, v25, v42
	v_sub_f32_e32 v33, v42, v43
	v_fmac_f32_e32 v26, 0xbf167918, v27
	v_fmac_f32_e32 v24, 0x3f167918, v27
	v_fmac_f32_e32 v23, 0x3e9e377a, v28
	v_fmac_f32_e32 v76, 0x3e9e377a, v28
	v_add_f32_e32 v28, v25, v43
	v_fmac_f32_e32 v26, 0x3e9e377a, v30
	v_fmac_f32_e32 v24, 0x3e9e377a, v30
	v_dual_fmamk_f32 v30, v27, 0x3f737871, v4 :: v_dual_add_f32 v25, v40, v46
	v_dual_fmac_f32 v4, 0xbf737871, v27 :: v_dual_add_f32 v27, v5, v34
	v_dual_add_f32 v32, v32, v33 :: v_dual_add_f32 v33, v34, v47
	s_delay_alu instid0(VALU_DEP_3)
	v_fma_f32 v25, -0.5, v25, v5
	v_sub_f32_e32 v35, v35, v43
	v_fmac_f32_e32 v30, 0xbf167918, v31
	v_dual_fmac_f32 v4, 0x3f167918, v31 :: v_dual_add_f32 v31, v27, v40
	v_sub_f32_e32 v29, v29, v42
	v_fmac_f32_e32 v5, -0.5, v33
	v_fmamk_f32 v27, v35, 0x3f737871, v25
	v_fmac_f32_e32 v30, 0x3e9e377a, v32
	v_fmac_f32_e32 v4, 0x3e9e377a, v32
	v_dual_add_f32 v32, v31, v46 :: v_dual_sub_f32 v33, v34, v40
	v_fmac_f32_e32 v25, 0xbf737871, v35
	v_dual_fmamk_f32 v31, v29, 0xbf737871, v5 :: v_dual_sub_f32 v34, v40, v34
	v_fmac_f32_e32 v5, 0x3f737871, v29
	v_fmac_f32_e32 v27, 0x3f167918, v29
	v_add_f32_e32 v33, v33, v36
	v_fmac_f32_e32 v25, 0xbf167918, v29
	s_delay_alu instid0(VALU_DEP_4)
	v_dual_add_f32 v34, v34, v37 :: v_dual_fmac_f32 v5, 0xbf167918, v35
	v_fmac_f32_e32 v31, 0x3f167918, v35
	v_add_f32_e32 v29, v32, v47
	v_fmac_f32_e32 v27, 0x3e9e377a, v33
	v_fmac_f32_e32 v25, 0x3e9e377a, v33
	;; [unrolled: 1-line block ×4, first 2 shown]
	ds_store_2addr_b64 v114, v[12:13], v[8:9] offset1:51
	ds_store_2addr_b64 v114, v[14:15], v[10:11] offset0:102 offset1:153
	ds_store_b64 v114, v[6:7] offset:1632
	ds_store_2addr_b64 v111, v[20:21], v[18:19] offset1:51
	ds_store_2addr_b64 v111, v[22:23], v[75:76] offset0:102 offset1:153
	ds_store_b64 v111, v[16:17] offset:1632
	;; [unrolled: 3-line block ×3, first 2 shown]
	s_waitcnt lgkmcnt(0)
	s_barrier
	buffer_gl0_inv
	ds_load_2addr_b64 v[4:7], v106 offset0:170 offset1:255
	ds_load_2addr_b64 v[8:11], v2 offset0:126 offset1:211
	;; [unrolled: 1-line block ×5, first 2 shown]
	ds_load_2addr_b64 v[24:27], v106 offset1:85
	ds_load_2addr_b64 v[0:3], v1 offset0:82 offset1:167
	ds_load_b64 v[28:29], v106 offset:9520
	s_waitcnt lgkmcnt(7)
	v_mul_f32_e32 v30, v65, v7
	s_waitcnt lgkmcnt(6)
	v_mul_f32_e32 v32, v67, v9
	s_waitcnt lgkmcnt(5)
	v_dual_mul_f32 v33, v67, v8 :: v_dual_mul_f32 v34, v69, v15
	s_waitcnt lgkmcnt(3)
	v_dual_mul_f32 v35, v53, v21 :: v_dual_fmac_f32 v30, v64, v6
	v_fmac_f32_e32 v32, v66, v8
	v_mul_f32_e32 v8, v71, v16
	v_fmac_f32_e32 v34, v68, v14
	s_delay_alu instid0(VALU_DEP_4)
	v_fmac_f32_e32 v35, v52, v20
	v_mul_f32_e32 v31, v65, v6
	v_mul_f32_e32 v6, v69, v14
	;; [unrolled: 1-line block ×3, first 2 shown]
	v_fma_f32 v33, v66, v9, -v33
	v_mul_f32_e32 v39, v57, v23
	v_fma_f32 v31, v64, v7, -v31
	v_fma_f32 v14, v68, v15, -v6
	;; [unrolled: 1-line block ×3, first 2 shown]
	v_mul_f32_e32 v6, v55, v10
	s_waitcnt lgkmcnt(1)
	v_mul_f32_e32 v8, v61, v0
	v_fmac_f32_e32 v36, v62, v18
	v_mul_f32_e32 v44, v49, v3
	v_mul_f32_e32 v40, v59, v13
	v_fma_f32 v37, v54, v11, -v6
	v_fma_f32 v38, v60, v1, -v8
	v_mul_f32_e32 v7, v71, v17
	v_mul_f32_e32 v17, v55, v11
	v_dual_fmac_f32 v39, v56, v22 :: v_dual_mul_f32 v6, v59, v12
	v_fmac_f32_e32 v44, v48, v2
	v_fmac_f32_e32 v40, v58, v12
	s_delay_alu instid0(VALU_DEP_4)
	v_fmac_f32_e32 v17, v54, v10
	v_mul_f32_e32 v9, v53, v20
	v_fma_f32 v43, v58, v13, -v6
	s_waitcnt lgkmcnt(0)
	v_dual_add_f32 v6, v24, v30 :: v_dual_mul_f32 v11, v51, v28
	v_add_f32_e32 v13, v25, v31
	v_fma_f32 v20, v52, v21, -v9
	v_mul_f32_e32 v21, v61, v1
	v_mul_f32_e32 v1, v57, v22
	v_dual_sub_f32 v22, v37, v38 :: v_dual_sub_f32 v9, v31, v15
	v_fma_f32 v46, v50, v29, -v11
	s_delay_alu instid0(VALU_DEP_4)
	v_dual_fmac_f32 v21, v60, v0 :: v_dual_mul_f32 v0, v63, v18
	v_fmac_f32_e32 v7, v70, v16
	v_fma_f32 v42, v56, v23, -v1
	v_mul_f32_e32 v1, v49, v2
	v_add_f32_e32 v16, v33, v14
	v_fma_f32 v41, v62, v19, -v0
	v_add_f32_e32 v0, v32, v34
	v_sub_f32_e32 v8, v7, v34
	v_fma_f32 v45, v48, v3, -v1
	v_add_f32_e32 v1, v6, v32
	v_sub_f32_e32 v3, v33, v14
	v_fma_f32 v0, -0.5, v0, v24
	v_sub_f32_e32 v6, v30, v32
	s_delay_alu instid0(VALU_DEP_4) | instskip(SKIP_1) | instid1(VALU_DEP_4)
	v_dual_add_f32 v10, v30, v7 :: v_dual_add_f32 v1, v1, v34
	v_sub_f32_e32 v18, v15, v14
	v_fmamk_f32 v2, v9, 0xbf737871, v0
	v_fmac_f32_e32 v0, 0x3f737871, v9
	v_add_f32_e32 v12, v6, v8
	v_fma_f32 v6, -0.5, v10, v24
	v_sub_f32_e32 v24, v36, v21
	v_fmac_f32_e32 v2, 0xbf167918, v3
	v_fmac_f32_e32 v0, 0x3f167918, v3
	v_add_f32_e32 v8, v1, v7
	v_dual_fmamk_f32 v10, v3, 0x3f737871, v6 :: v_dual_sub_f32 v1, v32, v30
	s_delay_alu instid0(VALU_DEP_4) | instskip(SKIP_3) | instid1(VALU_DEP_4)
	v_dual_fmac_f32 v2, 0x3e9e377a, v12 :: v_dual_sub_f32 v11, v34, v7
	v_dual_fmac_f32 v6, 0xbf737871, v3 :: v_dual_add_f32 v3, v13, v33
	v_fmac_f32_e32 v0, 0x3e9e377a, v12
	v_sub_f32_e32 v12, v31, v33
	v_dual_fmac_f32 v10, 0xbf167918, v9 :: v_dual_add_f32 v11, v1, v11
	v_fma_f32 v1, -0.5, v16, v25
	v_dual_sub_f32 v13, v30, v7 :: v_dual_fmac_f32 v6, 0x3f167918, v9
	v_add_f32_e32 v9, v3, v14
	v_dual_add_f32 v7, v31, v15 :: v_dual_add_f32 v18, v12, v18
	v_sub_f32_e32 v12, v33, v31
	s_delay_alu instid0(VALU_DEP_4) | instskip(SKIP_1) | instid1(VALU_DEP_4)
	v_dual_sub_f32 v14, v14, v15 :: v_dual_fmamk_f32 v3, v13, 0x3f737871, v1
	v_sub_f32_e32 v16, v32, v34
	v_fma_f32 v7, -0.5, v7, v25
	v_fmac_f32_e32 v1, 0xbf737871, v13
	s_delay_alu instid0(VALU_DEP_4)
	v_dual_add_f32 v19, v12, v14 :: v_dual_add_f32 v14, v26, v35
	v_fmac_f32_e32 v10, 0x3e9e377a, v11
	v_fmac_f32_e32 v6, 0x3e9e377a, v11
	;; [unrolled: 1-line block ×3, first 2 shown]
	v_fmamk_f32 v11, v16, 0xbf737871, v7
	v_fmac_f32_e32 v1, 0xbf167918, v16
	v_dual_fmac_f32 v7, 0x3f737871, v16 :: v_dual_sub_f32 v34, v43, v42
	v_add_f32_e32 v16, v14, v17
	s_delay_alu instid0(VALU_DEP_4) | instskip(SKIP_1) | instid1(VALU_DEP_4)
	v_fmac_f32_e32 v11, 0x3f167918, v13
	v_add_f32_e32 v9, v9, v15
	v_fmac_f32_e32 v7, 0xbf167918, v13
	v_fmac_f32_e32 v3, 0x3e9e377a, v18
	v_add_f32_e32 v13, v16, v21
	v_sub_f32_e32 v33, v46, v45
	s_delay_alu instid0(VALU_DEP_2) | instskip(SKIP_1) | instid1(VALU_DEP_1)
	v_dual_fmac_f32 v7, 0x3e9e377a, v19 :: v_dual_add_f32 v16, v13, v36
	v_add_f32_e32 v15, v17, v21
	v_fma_f32 v12, -0.5, v15, v26
	v_sub_f32_e32 v15, v20, v41
	s_delay_alu instid0(VALU_DEP_1) | instskip(SKIP_2) | instid1(VALU_DEP_3)
	v_fmamk_f32 v14, v15, 0xbf737871, v12
	v_dual_fmac_f32 v12, 0x3f737871, v15 :: v_dual_mul_f32 v23, v51, v29
	v_sub_f32_e32 v29, v41, v38
	v_dual_fmac_f32 v14, 0xbf167918, v22 :: v_dual_add_f32 v25, v35, v36
	s_delay_alu instid0(VALU_DEP_3) | instskip(NEXT) | instid1(VALU_DEP_2)
	v_dual_fmac_f32 v12, 0x3f167918, v22 :: v_dual_sub_f32 v13, v17, v35
	v_fma_f32 v26, -0.5, v25, v26
	v_fmac_f32_e32 v23, v50, v28
	v_dual_fmac_f32 v1, 0x3e9e377a, v18 :: v_dual_sub_f32 v18, v35, v17
	v_dual_add_f32 v25, v27, v20 :: v_dual_add_f32 v28, v37, v38
	s_delay_alu instid0(VALU_DEP_2) | instskip(SKIP_2) | instid1(VALU_DEP_4)
	v_add_f32_e32 v24, v18, v24
	v_fmamk_f32 v18, v22, 0x3f737871, v26
	v_fmac_f32_e32 v26, 0xbf737871, v22
	v_add_f32_e32 v22, v25, v37
	v_sub_f32_e32 v32, v44, v23
	v_fmac_f32_e32 v11, 0x3e9e377a, v19
	v_sub_f32_e32 v19, v21, v36
	v_fmac_f32_e32 v14, 0x3e9e377a, v24
	;; [unrolled: 2-line block ×3, first 2 shown]
	s_delay_alu instid0(VALU_DEP_4)
	v_dual_add_f32 v22, v22, v38 :: v_dual_add_f32 v19, v13, v19
	v_fma_f32 v13, -0.5, v28, v27
	v_add_f32_e32 v24, v20, v41
	v_sub_f32_e32 v28, v20, v37
	v_fmac_f32_e32 v18, 0xbf167918, v15
	v_fmac_f32_e32 v26, 0x3f167918, v15
	v_fmamk_f32 v15, v25, 0x3f737871, v13
	v_sub_f32_e32 v21, v17, v21
	v_fmac_f32_e32 v27, -0.5, v24
	v_add_f32_e32 v17, v22, v41
	v_add_f32_e32 v22, v28, v29
	v_dual_fmac_f32 v13, 0xbf737871, v25 :: v_dual_sub_f32 v20, v37, v20
	v_sub_f32_e32 v24, v38, v41
	v_add_f32_e32 v28, v40, v44
	v_fmac_f32_e32 v18, 0x3e9e377a, v19
	v_fmac_f32_e32 v26, 0x3e9e377a, v19
	;; [unrolled: 1-line block ×3, first 2 shown]
	v_fmamk_f32 v19, v21, 0xbf737871, v27
	v_dual_fmac_f32 v13, 0xbf167918, v21 :: v_dual_add_f32 v24, v20, v24
	v_fmac_f32_e32 v27, 0x3f737871, v21
	v_fma_f32 v20, -0.5, v28, v4
	v_sub_f32_e32 v29, v42, v46
	v_add_f32_e32 v21, v4, v39
	v_fmac_f32_e32 v15, 0x3e9e377a, v22
	v_fmac_f32_e32 v19, 0x3f167918, v25
	;; [unrolled: 1-line block ×4, first 2 shown]
	v_dual_fmamk_f32 v22, v29, 0xbf737871, v20 :: v_dual_sub_f32 v25, v43, v45
	v_sub_f32_e32 v28, v39, v40
	v_sub_f32_e32 v30, v23, v44
	v_dual_fmac_f32 v20, 0x3f737871, v29 :: v_dual_add_f32 v31, v39, v23
	s_delay_alu instid0(VALU_DEP_4) | instskip(NEXT) | instid1(VALU_DEP_3)
	v_dual_add_f32 v21, v21, v40 :: v_dual_fmac_f32 v22, 0xbf167918, v25
	v_add_f32_e32 v28, v28, v30
	s_delay_alu instid0(VALU_DEP_3) | instskip(NEXT) | instid1(VALU_DEP_4)
	v_fmac_f32_e32 v20, 0x3f167918, v25
	v_fma_f32 v4, -0.5, v31, v4
	s_delay_alu instid0(VALU_DEP_4)
	v_add_f32_e32 v21, v21, v44
	v_fmac_f32_e32 v19, 0x3e9e377a, v24
	v_fmac_f32_e32 v22, 0x3e9e377a, v28
	v_fmac_f32_e32 v20, 0x3e9e377a, v28
	v_fmamk_f32 v28, v25, 0x3f737871, v4
	v_fmac_f32_e32 v4, 0xbf737871, v25
	v_dual_fmac_f32 v27, 0x3e9e377a, v24 :: v_dual_add_f32 v24, v21, v23
	v_dual_add_f32 v21, v5, v42 :: v_dual_add_f32 v30, v43, v45
	s_delay_alu instid0(VALU_DEP_4) | instskip(NEXT) | instid1(VALU_DEP_4)
	v_dual_sub_f32 v31, v40, v39 :: v_dual_fmac_f32 v28, 0xbf167918, v29
	v_dual_fmac_f32 v4, 0x3f167918, v29 :: v_dual_add_f32 v29, v42, v46
	s_delay_alu instid0(VALU_DEP_3) | instskip(NEXT) | instid1(VALU_DEP_4)
	v_add_f32_e32 v25, v21, v43
	v_fma_f32 v21, -0.5, v30, v5
	v_sub_f32_e32 v30, v39, v23
	v_add_f32_e32 v31, v31, v32
	v_dual_sub_f32 v32, v40, v44 :: v_dual_fmac_f32 v5, -0.5, v29
	v_sub_f32_e32 v35, v45, v46
	s_delay_alu instid0(VALU_DEP_4) | instskip(NEXT) | instid1(VALU_DEP_4)
	v_fmamk_f32 v23, v30, 0x3f737871, v21
	v_fmac_f32_e32 v28, 0x3e9e377a, v31
	v_fmac_f32_e32 v4, 0x3e9e377a, v31
	v_sub_f32_e32 v31, v42, v43
	v_fmac_f32_e32 v21, 0xbf737871, v30
	v_fmamk_f32 v29, v32, 0xbf737871, v5
	v_fmac_f32_e32 v5, 0x3f737871, v32
	v_fmac_f32_e32 v23, 0x3f167918, v32
	v_add_f32_e32 v31, v31, v33
	v_fmac_f32_e32 v21, 0xbf167918, v32
	v_fmac_f32_e32 v29, 0x3f167918, v30
	;; [unrolled: 1-line block ×3, first 2 shown]
	v_dual_add_f32 v25, v25, v45 :: v_dual_add_nc_u32 v30, 0x7f8, v107
	v_add_f32_e32 v32, v34, v35
	v_fmac_f32_e32 v23, 0x3e9e377a, v31
	v_fmac_f32_e32 v21, 0x3e9e377a, v31
	v_add_nc_u32_e32 v31, 0x17e8, v107
	ds_store_b64 v116, v[8:9]
	ds_store_2addr_b64 v30, v[2:3], v[10:11] offset1:255
	v_add_nc_u32_e32 v2, 0x7f8, v118
	v_add_nc_u32_e32 v3, 0x17e8, v118
	v_add_f32_e32 v25, v25, v46
	v_fmac_f32_e32 v29, 0x3e9e377a, v32
	ds_store_2addr_b64 v31, v[6:7], v[0:1] offset1:255
	v_add_nc_u32_e32 v0, 0x7f8, v117
	v_fmac_f32_e32 v5, 0x3e9e377a, v32
	v_add_nc_u32_e32 v1, 0x17e8, v117
	ds_store_2addr_b64 v2, v[14:15], v[18:19] offset1:255
	ds_store_2addr_b64 v3, v[26:27], v[12:13] offset1:255
	ds_store_2addr_b64 v107, v[16:17], v[24:25] offset0:85 offset1:170
	ds_store_2addr_b64 v0, v[22:23], v[28:29] offset1:255
	ds_store_2addr_b64 v1, v[4:5], v[20:21] offset1:255
	s_waitcnt lgkmcnt(0)
	s_barrier
	buffer_gl0_inv
	s_and_b32 exec_lo, exec_lo, vcc_lo
	s_cbranch_execz .LBB0_15
; %bb.14:
	global_load_b64 v[0:1], v103, s[12:13]
	ds_load_b64 v[2:3], v116
	v_mad_u64_u32 v[6:7], null, s4, v104, 0
	s_mov_b32 s0, 0xe68019b3
	s_mov_b32 s1, 0x3f49b34c
	s_mul_i32 s2, s5, 0x258
	s_mul_i32 s3, s4, 0x258
	v_add_nc_u32_e32 v12, 0x1000, v107
	s_waitcnt vmcnt(0) lgkmcnt(0)
	v_mul_f32_e32 v4, v3, v1
	v_mul_f32_e32 v1, v2, v1
	s_delay_alu instid0(VALU_DEP_2) | instskip(NEXT) | instid1(VALU_DEP_2)
	v_fmac_f32_e32 v4, v2, v0
	v_fma_f32 v2, v0, v3, -v1
	s_delay_alu instid0(VALU_DEP_2) | instskip(NEXT) | instid1(VALU_DEP_2)
	v_cvt_f64_f32_e32 v[0:1], v4
	v_cvt_f64_f32_e32 v[2:3], v2
	v_mad_u64_u32 v[4:5], null, s6, v100, 0
	s_delay_alu instid0(VALU_DEP_3) | instskip(NEXT) | instid1(VALU_DEP_3)
	v_mul_f64 v[0:1], v[0:1], s[0:1]
	v_mul_f64 v[2:3], v[2:3], s[0:1]
	s_delay_alu instid0(VALU_DEP_2) | instskip(NEXT) | instid1(VALU_DEP_2)
	v_cvt_f32_f64_e32 v0, v[0:1]
	v_cvt_f32_f64_e32 v1, v[2:3]
	v_dual_mov_b32 v3, v7 :: v_dual_mov_b32 v2, v5
	s_delay_alu instid0(VALU_DEP_1) | instskip(SKIP_4) | instid1(VALU_DEP_3)
	v_mad_u64_u32 v[7:8], null, s7, v100, v[2:3]
	v_mad_u64_u32 v[8:9], null, s5, v104, v[3:4]
	s_mul_hi_u32 s5, s4, 0x258
	v_add_co_u32 v10, s4, s12, v103
	s_add_i32 s2, s5, s2
	v_mov_b32_e32 v5, v7
	v_add_co_ci_u32_e64 v11, null, s13, 0, s4
	s_delay_alu instid0(VALU_DEP_4) | instskip(NEXT) | instid1(VALU_DEP_3)
	v_mov_b32_e32 v7, v8
	v_lshlrev_b64 v[2:3], 3, v[4:5]
	s_delay_alu instid0(VALU_DEP_2) | instskip(NEXT) | instid1(VALU_DEP_2)
	v_lshlrev_b64 v[4:5], 3, v[6:7]
	v_add_co_u32 v2, vcc_lo, s14, v2
	s_delay_alu instid0(VALU_DEP_3) | instskip(NEXT) | instid1(VALU_DEP_2)
	v_add_co_ci_u32_e32 v3, vcc_lo, s15, v3, vcc_lo
	v_add_co_u32 v4, vcc_lo, v2, v4
	s_delay_alu instid0(VALU_DEP_2)
	v_add_co_ci_u32_e32 v5, vcc_lo, v3, v5, vcc_lo
	global_store_b64 v[4:5], v[0:1], off
	global_load_b64 v[6:7], v103, s[12:13] offset:600
	ds_load_2addr_b64 v[0:3], v107 offset0:75 offset1:150
	v_add_co_u32 v4, vcc_lo, v4, s3
	v_add_co_ci_u32_e32 v5, vcc_lo, s2, v5, vcc_lo
	s_waitcnt vmcnt(0) lgkmcnt(0)
	v_mul_f32_e32 v8, v1, v7
	v_mul_f32_e32 v7, v0, v7
	s_delay_alu instid0(VALU_DEP_2) | instskip(NEXT) | instid1(VALU_DEP_2)
	v_fmac_f32_e32 v8, v0, v6
	v_fma_f32 v6, v6, v1, -v7
	s_delay_alu instid0(VALU_DEP_2) | instskip(NEXT) | instid1(VALU_DEP_2)
	v_cvt_f64_f32_e32 v[0:1], v8
	v_cvt_f64_f32_e32 v[6:7], v6
	s_delay_alu instid0(VALU_DEP_2) | instskip(NEXT) | instid1(VALU_DEP_2)
	v_mul_f64 v[0:1], v[0:1], s[0:1]
	v_mul_f64 v[6:7], v[6:7], s[0:1]
	s_delay_alu instid0(VALU_DEP_2) | instskip(NEXT) | instid1(VALU_DEP_2)
	v_cvt_f32_f64_e32 v0, v[0:1]
	v_cvt_f32_f64_e32 v1, v[6:7]
	global_store_b64 v[4:5], v[0:1], off
	global_load_b64 v[0:1], v103, s[12:13] offset:1200
	v_add_co_u32 v4, vcc_lo, v4, s3
	v_add_co_ci_u32_e32 v5, vcc_lo, s2, v5, vcc_lo
	s_waitcnt vmcnt(0)
	v_mul_f32_e32 v6, v3, v1
	v_mul_f32_e32 v1, v2, v1
	s_delay_alu instid0(VALU_DEP_2) | instskip(NEXT) | instid1(VALU_DEP_2)
	v_fmac_f32_e32 v6, v2, v0
	v_fma_f32 v2, v0, v3, -v1
	s_delay_alu instid0(VALU_DEP_2) | instskip(NEXT) | instid1(VALU_DEP_2)
	v_cvt_f64_f32_e32 v[0:1], v6
	v_cvt_f64_f32_e32 v[2:3], v2
	s_delay_alu instid0(VALU_DEP_2) | instskip(NEXT) | instid1(VALU_DEP_2)
	v_mul_f64 v[0:1], v[0:1], s[0:1]
	v_mul_f64 v[2:3], v[2:3], s[0:1]
	s_delay_alu instid0(VALU_DEP_2) | instskip(NEXT) | instid1(VALU_DEP_2)
	v_cvt_f32_f64_e32 v0, v[0:1]
	v_cvt_f32_f64_e32 v1, v[2:3]
	global_store_b64 v[4:5], v[0:1], off
	global_load_b64 v[6:7], v103, s[12:13] offset:1800
	v_add_nc_u32_e32 v0, 0x400, v107
	v_add_co_u32 v4, vcc_lo, v4, s3
	v_add_co_ci_u32_e32 v5, vcc_lo, s2, v5, vcc_lo
	ds_load_2addr_b64 v[0:3], v0 offset0:97 offset1:172
	s_waitcnt vmcnt(0) lgkmcnt(0)
	v_mul_f32_e32 v8, v1, v7
	v_mul_f32_e32 v7, v0, v7
	s_delay_alu instid0(VALU_DEP_2) | instskip(NEXT) | instid1(VALU_DEP_2)
	v_fmac_f32_e32 v8, v0, v6
	v_fma_f32 v6, v6, v1, -v7
	s_delay_alu instid0(VALU_DEP_2) | instskip(NEXT) | instid1(VALU_DEP_2)
	v_cvt_f64_f32_e32 v[0:1], v8
	v_cvt_f64_f32_e32 v[6:7], v6
	s_delay_alu instid0(VALU_DEP_2) | instskip(NEXT) | instid1(VALU_DEP_2)
	v_mul_f64 v[0:1], v[0:1], s[0:1]
	v_mul_f64 v[6:7], v[6:7], s[0:1]
	s_delay_alu instid0(VALU_DEP_2) | instskip(NEXT) | instid1(VALU_DEP_2)
	v_cvt_f32_f64_e32 v0, v[0:1]
	v_cvt_f32_f64_e32 v1, v[6:7]
	global_store_b64 v[4:5], v[0:1], off
	global_load_b64 v[0:1], v103, s[12:13] offset:2400
	v_add_co_u32 v4, vcc_lo, v4, s3
	v_add_co_ci_u32_e32 v5, vcc_lo, s2, v5, vcc_lo
	s_waitcnt vmcnt(0)
	v_mul_f32_e32 v6, v3, v1
	v_mul_f32_e32 v1, v2, v1
	s_delay_alu instid0(VALU_DEP_2) | instskip(NEXT) | instid1(VALU_DEP_2)
	v_fmac_f32_e32 v6, v2, v0
	v_fma_f32 v2, v0, v3, -v1
	s_delay_alu instid0(VALU_DEP_2) | instskip(NEXT) | instid1(VALU_DEP_2)
	v_cvt_f64_f32_e32 v[0:1], v6
	v_cvt_f64_f32_e32 v[2:3], v2
	s_delay_alu instid0(VALU_DEP_2) | instskip(NEXT) | instid1(VALU_DEP_2)
	v_mul_f64 v[0:1], v[0:1], s[0:1]
	v_mul_f64 v[2:3], v[2:3], s[0:1]
	s_delay_alu instid0(VALU_DEP_2) | instskip(NEXT) | instid1(VALU_DEP_2)
	v_cvt_f32_f64_e32 v0, v[0:1]
	v_cvt_f32_f64_e32 v1, v[2:3]
	global_store_b64 v[4:5], v[0:1], off
	global_load_b64 v[6:7], v103, s[12:13] offset:3000
	v_add_nc_u32_e32 v0, 0x800, v107
	v_add_co_u32 v4, vcc_lo, v4, s3
	v_add_co_ci_u32_e32 v5, vcc_lo, s2, v5, vcc_lo
	ds_load_2addr_b64 v[0:3], v0 offset0:119 offset1:194
	s_waitcnt vmcnt(0) lgkmcnt(0)
	v_mul_f32_e32 v8, v1, v7
	v_mul_f32_e32 v7, v0, v7
	s_delay_alu instid0(VALU_DEP_2) | instskip(NEXT) | instid1(VALU_DEP_2)
	v_fmac_f32_e32 v8, v0, v6
	v_fma_f32 v6, v6, v1, -v7
	s_delay_alu instid0(VALU_DEP_2) | instskip(NEXT) | instid1(VALU_DEP_2)
	v_cvt_f64_f32_e32 v[0:1], v8
	v_cvt_f64_f32_e32 v[6:7], v6
	s_delay_alu instid0(VALU_DEP_2) | instskip(NEXT) | instid1(VALU_DEP_2)
	v_mul_f64 v[0:1], v[0:1], s[0:1]
	v_mul_f64 v[6:7], v[6:7], s[0:1]
	s_delay_alu instid0(VALU_DEP_2) | instskip(NEXT) | instid1(VALU_DEP_2)
	v_cvt_f32_f64_e32 v0, v[0:1]
	v_cvt_f32_f64_e32 v1, v[6:7]
	global_store_b64 v[4:5], v[0:1], off
	global_load_b64 v[0:1], v103, s[12:13] offset:3600
	v_add_co_u32 v4, vcc_lo, v4, s3
	v_add_co_ci_u32_e32 v5, vcc_lo, s2, v5, vcc_lo
	s_waitcnt vmcnt(0)
	v_mul_f32_e32 v6, v3, v1
	v_mul_f32_e32 v1, v2, v1
	s_delay_alu instid0(VALU_DEP_2) | instskip(NEXT) | instid1(VALU_DEP_2)
	v_fmac_f32_e32 v6, v2, v0
	v_fma_f32 v2, v0, v3, -v1
	s_delay_alu instid0(VALU_DEP_2) | instskip(NEXT) | instid1(VALU_DEP_2)
	v_cvt_f64_f32_e32 v[0:1], v6
	v_cvt_f64_f32_e32 v[2:3], v2
	v_add_co_u32 v6, vcc_lo, 0x1000, v10
	v_add_co_ci_u32_e32 v7, vcc_lo, 0, v11, vcc_lo
	s_delay_alu instid0(VALU_DEP_4) | instskip(NEXT) | instid1(VALU_DEP_4)
	v_mul_f64 v[0:1], v[0:1], s[0:1]
	v_mul_f64 v[2:3], v[2:3], s[0:1]
	s_delay_alu instid0(VALU_DEP_2) | instskip(NEXT) | instid1(VALU_DEP_2)
	v_cvt_f32_f64_e32 v0, v[0:1]
	v_cvt_f32_f64_e32 v1, v[2:3]
	global_store_b64 v[4:5], v[0:1], off
	global_load_b64 v[8:9], v[6:7], off offset:104
	ds_load_2addr_b64 v[0:3], v12 offset0:13 offset1:88
	v_add_co_u32 v4, vcc_lo, v4, s3
	v_add_co_ci_u32_e32 v5, vcc_lo, s2, v5, vcc_lo
	s_waitcnt vmcnt(0) lgkmcnt(0)
	v_mul_f32_e32 v13, v1, v9
	v_mul_f32_e32 v9, v0, v9
	s_delay_alu instid0(VALU_DEP_2) | instskip(NEXT) | instid1(VALU_DEP_2)
	v_fmac_f32_e32 v13, v0, v8
	v_fma_f32 v8, v8, v1, -v9
	s_delay_alu instid0(VALU_DEP_2) | instskip(NEXT) | instid1(VALU_DEP_2)
	v_cvt_f64_f32_e32 v[0:1], v13
	v_cvt_f64_f32_e32 v[8:9], v8
	s_delay_alu instid0(VALU_DEP_2) | instskip(NEXT) | instid1(VALU_DEP_2)
	v_mul_f64 v[0:1], v[0:1], s[0:1]
	v_mul_f64 v[8:9], v[8:9], s[0:1]
	s_delay_alu instid0(VALU_DEP_2) | instskip(NEXT) | instid1(VALU_DEP_2)
	v_cvt_f32_f64_e32 v0, v[0:1]
	v_cvt_f32_f64_e32 v1, v[8:9]
	global_store_b64 v[4:5], v[0:1], off
	global_load_b64 v[0:1], v[6:7], off offset:704
	v_add_co_u32 v4, vcc_lo, v4, s3
	v_add_co_ci_u32_e32 v5, vcc_lo, s2, v5, vcc_lo
	s_waitcnt vmcnt(0)
	v_mul_f32_e32 v8, v3, v1
	v_mul_f32_e32 v1, v2, v1
	s_delay_alu instid0(VALU_DEP_2) | instskip(NEXT) | instid1(VALU_DEP_2)
	v_fmac_f32_e32 v8, v2, v0
	v_fma_f32 v2, v0, v3, -v1
	s_delay_alu instid0(VALU_DEP_2) | instskip(NEXT) | instid1(VALU_DEP_2)
	v_cvt_f64_f32_e32 v[0:1], v8
	v_cvt_f64_f32_e32 v[2:3], v2
	s_delay_alu instid0(VALU_DEP_2) | instskip(NEXT) | instid1(VALU_DEP_2)
	v_mul_f64 v[0:1], v[0:1], s[0:1]
	v_mul_f64 v[2:3], v[2:3], s[0:1]
	s_delay_alu instid0(VALU_DEP_2) | instskip(NEXT) | instid1(VALU_DEP_2)
	v_cvt_f32_f64_e32 v0, v[0:1]
	v_cvt_f32_f64_e32 v1, v[2:3]
	global_store_b64 v[4:5], v[0:1], off
	global_load_b64 v[8:9], v[6:7], off offset:1304
	ds_load_2addr_b64 v[0:3], v12 offset0:163 offset1:238
	v_add_co_u32 v4, vcc_lo, v4, s3
	v_add_co_ci_u32_e32 v5, vcc_lo, s2, v5, vcc_lo
	s_waitcnt vmcnt(0) lgkmcnt(0)
	v_mul_f32_e32 v12, v1, v9
	v_mul_f32_e32 v9, v0, v9
	s_delay_alu instid0(VALU_DEP_2) | instskip(NEXT) | instid1(VALU_DEP_2)
	v_fmac_f32_e32 v12, v0, v8
	v_fma_f32 v8, v8, v1, -v9
	s_delay_alu instid0(VALU_DEP_2) | instskip(NEXT) | instid1(VALU_DEP_2)
	v_cvt_f64_f32_e32 v[0:1], v12
	v_cvt_f64_f32_e32 v[8:9], v8
	s_delay_alu instid0(VALU_DEP_2) | instskip(NEXT) | instid1(VALU_DEP_2)
	v_mul_f64 v[0:1], v[0:1], s[0:1]
	v_mul_f64 v[8:9], v[8:9], s[0:1]
	s_delay_alu instid0(VALU_DEP_2) | instskip(NEXT) | instid1(VALU_DEP_2)
	v_cvt_f32_f64_e32 v0, v[0:1]
	v_cvt_f32_f64_e32 v1, v[8:9]
	global_store_b64 v[4:5], v[0:1], off
	global_load_b64 v[0:1], v[6:7], off offset:1904
	v_add_co_u32 v4, vcc_lo, v4, s3
	v_add_co_ci_u32_e32 v5, vcc_lo, s2, v5, vcc_lo
	s_waitcnt vmcnt(0)
	v_mul_f32_e32 v8, v3, v1
	v_mul_f32_e32 v1, v2, v1
	s_delay_alu instid0(VALU_DEP_2) | instskip(NEXT) | instid1(VALU_DEP_2)
	v_fmac_f32_e32 v8, v2, v0
	v_fma_f32 v2, v0, v3, -v1
	s_delay_alu instid0(VALU_DEP_2) | instskip(NEXT) | instid1(VALU_DEP_2)
	v_cvt_f64_f32_e32 v[0:1], v8
	v_cvt_f64_f32_e32 v[2:3], v2
	s_delay_alu instid0(VALU_DEP_2) | instskip(NEXT) | instid1(VALU_DEP_2)
	v_mul_f64 v[0:1], v[0:1], s[0:1]
	v_mul_f64 v[2:3], v[2:3], s[0:1]
	s_delay_alu instid0(VALU_DEP_2) | instskip(NEXT) | instid1(VALU_DEP_2)
	v_cvt_f32_f64_e32 v0, v[0:1]
	v_cvt_f32_f64_e32 v1, v[2:3]
	global_store_b64 v[4:5], v[0:1], off
	global_load_b64 v[8:9], v[6:7], off offset:2504
	v_add_nc_u32_e32 v0, 0x1800, v107
	v_add_co_u32 v4, vcc_lo, v4, s3
	v_add_co_ci_u32_e32 v5, vcc_lo, s2, v5, vcc_lo
	ds_load_2addr_b64 v[0:3], v0 offset0:57 offset1:132
	s_waitcnt vmcnt(0) lgkmcnt(0)
	v_mul_f32_e32 v12, v1, v9
	v_mul_f32_e32 v9, v0, v9
	s_delay_alu instid0(VALU_DEP_2) | instskip(NEXT) | instid1(VALU_DEP_2)
	v_fmac_f32_e32 v12, v0, v8
	v_fma_f32 v8, v8, v1, -v9
	s_delay_alu instid0(VALU_DEP_2) | instskip(NEXT) | instid1(VALU_DEP_2)
	v_cvt_f64_f32_e32 v[0:1], v12
	v_cvt_f64_f32_e32 v[8:9], v8
	s_delay_alu instid0(VALU_DEP_2) | instskip(NEXT) | instid1(VALU_DEP_2)
	v_mul_f64 v[0:1], v[0:1], s[0:1]
	v_mul_f64 v[8:9], v[8:9], s[0:1]
	s_delay_alu instid0(VALU_DEP_2) | instskip(NEXT) | instid1(VALU_DEP_2)
	v_cvt_f32_f64_e32 v0, v[0:1]
	v_cvt_f32_f64_e32 v1, v[8:9]
	global_store_b64 v[4:5], v[0:1], off
	global_load_b64 v[0:1], v[6:7], off offset:3104
	v_add_co_u32 v4, vcc_lo, v4, s3
	v_add_co_ci_u32_e32 v5, vcc_lo, s2, v5, vcc_lo
	s_waitcnt vmcnt(0)
	v_mul_f32_e32 v8, v3, v1
	v_mul_f32_e32 v1, v2, v1
	s_delay_alu instid0(VALU_DEP_2) | instskip(NEXT) | instid1(VALU_DEP_2)
	v_fmac_f32_e32 v8, v2, v0
	v_fma_f32 v2, v0, v3, -v1
	s_delay_alu instid0(VALU_DEP_2) | instskip(NEXT) | instid1(VALU_DEP_2)
	v_cvt_f64_f32_e32 v[0:1], v8
	v_cvt_f64_f32_e32 v[2:3], v2
	s_delay_alu instid0(VALU_DEP_2) | instskip(NEXT) | instid1(VALU_DEP_2)
	v_mul_f64 v[0:1], v[0:1], s[0:1]
	v_mul_f64 v[2:3], v[2:3], s[0:1]
	s_delay_alu instid0(VALU_DEP_2) | instskip(NEXT) | instid1(VALU_DEP_2)
	v_cvt_f32_f64_e32 v0, v[0:1]
	v_cvt_f32_f64_e32 v1, v[2:3]
	global_store_b64 v[4:5], v[0:1], off
	global_load_b64 v[6:7], v[6:7], off offset:3704
	v_add_nc_u32_e32 v0, 0x1c00, v107
	v_add_co_u32 v4, vcc_lo, v4, s3
	v_add_co_ci_u32_e32 v5, vcc_lo, s2, v5, vcc_lo
	ds_load_2addr_b64 v[0:3], v0 offset0:79 offset1:154
	s_waitcnt vmcnt(0) lgkmcnt(0)
	v_mul_f32_e32 v8, v1, v7
	v_mul_f32_e32 v7, v0, v7
	s_delay_alu instid0(VALU_DEP_2) | instskip(NEXT) | instid1(VALU_DEP_2)
	v_fmac_f32_e32 v8, v0, v6
	v_fma_f32 v6, v6, v1, -v7
	s_delay_alu instid0(VALU_DEP_2) | instskip(NEXT) | instid1(VALU_DEP_2)
	v_cvt_f64_f32_e32 v[0:1], v8
	v_cvt_f64_f32_e32 v[6:7], v6
	s_delay_alu instid0(VALU_DEP_2) | instskip(NEXT) | instid1(VALU_DEP_2)
	v_mul_f64 v[0:1], v[0:1], s[0:1]
	v_mul_f64 v[6:7], v[6:7], s[0:1]
	s_delay_alu instid0(VALU_DEP_2) | instskip(NEXT) | instid1(VALU_DEP_2)
	v_cvt_f32_f64_e32 v0, v[0:1]
	v_cvt_f32_f64_e32 v1, v[6:7]
	v_add_co_u32 v6, vcc_lo, 0x2000, v10
	v_add_co_ci_u32_e32 v7, vcc_lo, 0, v11, vcc_lo
	global_store_b64 v[4:5], v[0:1], off
	global_load_b64 v[0:1], v[6:7], off offset:208
	v_add_co_u32 v4, vcc_lo, v4, s3
	v_add_co_ci_u32_e32 v5, vcc_lo, s2, v5, vcc_lo
	s_waitcnt vmcnt(0)
	v_mul_f32_e32 v8, v3, v1
	v_mul_f32_e32 v1, v2, v1
	s_delay_alu instid0(VALU_DEP_2) | instskip(NEXT) | instid1(VALU_DEP_2)
	v_fmac_f32_e32 v8, v2, v0
	v_fma_f32 v2, v0, v3, -v1
	s_delay_alu instid0(VALU_DEP_2) | instskip(NEXT) | instid1(VALU_DEP_2)
	v_cvt_f64_f32_e32 v[0:1], v8
	v_cvt_f64_f32_e32 v[2:3], v2
	s_delay_alu instid0(VALU_DEP_2) | instskip(NEXT) | instid1(VALU_DEP_2)
	v_mul_f64 v[0:1], v[0:1], s[0:1]
	v_mul_f64 v[2:3], v[2:3], s[0:1]
	s_delay_alu instid0(VALU_DEP_2) | instskip(NEXT) | instid1(VALU_DEP_2)
	v_cvt_f32_f64_e32 v0, v[0:1]
	v_cvt_f32_f64_e32 v1, v[2:3]
	global_store_b64 v[4:5], v[0:1], off
	global_load_b64 v[8:9], v[6:7], off offset:808
	v_add_nc_u32_e32 v0, 0x2000, v107
	v_add_co_u32 v4, vcc_lo, v4, s3
	v_add_co_ci_u32_e32 v5, vcc_lo, s2, v5, vcc_lo
	ds_load_2addr_b64 v[0:3], v0 offset0:101 offset1:176
	s_waitcnt vmcnt(0) lgkmcnt(0)
	v_mul_f32_e32 v10, v1, v9
	v_mul_f32_e32 v9, v0, v9
	s_delay_alu instid0(VALU_DEP_2) | instskip(NEXT) | instid1(VALU_DEP_2)
	v_fmac_f32_e32 v10, v0, v8
	v_fma_f32 v8, v8, v1, -v9
	s_delay_alu instid0(VALU_DEP_2) | instskip(NEXT) | instid1(VALU_DEP_2)
	v_cvt_f64_f32_e32 v[0:1], v10
	v_cvt_f64_f32_e32 v[8:9], v8
	s_delay_alu instid0(VALU_DEP_2) | instskip(NEXT) | instid1(VALU_DEP_2)
	v_mul_f64 v[0:1], v[0:1], s[0:1]
	v_mul_f64 v[8:9], v[8:9], s[0:1]
	s_delay_alu instid0(VALU_DEP_2) | instskip(NEXT) | instid1(VALU_DEP_2)
	v_cvt_f32_f64_e32 v0, v[0:1]
	v_cvt_f32_f64_e32 v1, v[8:9]
	global_store_b64 v[4:5], v[0:1], off
	global_load_b64 v[0:1], v[6:7], off offset:1408
	s_waitcnt vmcnt(0)
	v_mul_f32_e32 v6, v3, v1
	v_mul_f32_e32 v1, v2, v1
	s_delay_alu instid0(VALU_DEP_2) | instskip(NEXT) | instid1(VALU_DEP_2)
	v_fmac_f32_e32 v6, v2, v0
	v_fma_f32 v2, v0, v3, -v1
	s_delay_alu instid0(VALU_DEP_2) | instskip(NEXT) | instid1(VALU_DEP_2)
	v_cvt_f64_f32_e32 v[0:1], v6
	v_cvt_f64_f32_e32 v[2:3], v2
	s_delay_alu instid0(VALU_DEP_2) | instskip(NEXT) | instid1(VALU_DEP_2)
	v_mul_f64 v[0:1], v[0:1], s[0:1]
	v_mul_f64 v[2:3], v[2:3], s[0:1]
	s_delay_alu instid0(VALU_DEP_2) | instskip(NEXT) | instid1(VALU_DEP_2)
	v_cvt_f32_f64_e32 v0, v[0:1]
	v_cvt_f32_f64_e32 v1, v[2:3]
	v_add_co_u32 v2, vcc_lo, v4, s3
	v_add_co_ci_u32_e32 v3, vcc_lo, s2, v5, vcc_lo
	global_store_b64 v[2:3], v[0:1], off
.LBB0_15:
	s_nop 0
	s_sendmsg sendmsg(MSG_DEALLOC_VGPRS)
	s_endpgm
	.section	.rodata,"a",@progbits
	.p2align	6, 0x0
	.amdhsa_kernel bluestein_single_fwd_len1275_dim1_sp_op_CI_CI
		.amdhsa_group_segment_fixed_size 30600
		.amdhsa_private_segment_fixed_size 0
		.amdhsa_kernarg_size 104
		.amdhsa_user_sgpr_count 15
		.amdhsa_user_sgpr_dispatch_ptr 0
		.amdhsa_user_sgpr_queue_ptr 0
		.amdhsa_user_sgpr_kernarg_segment_ptr 1
		.amdhsa_user_sgpr_dispatch_id 0
		.amdhsa_user_sgpr_private_segment_size 0
		.amdhsa_wavefront_size32 1
		.amdhsa_uses_dynamic_stack 0
		.amdhsa_enable_private_segment 0
		.amdhsa_system_sgpr_workgroup_id_x 1
		.amdhsa_system_sgpr_workgroup_id_y 0
		.amdhsa_system_sgpr_workgroup_id_z 0
		.amdhsa_system_sgpr_workgroup_info 0
		.amdhsa_system_vgpr_workitem_id 0
		.amdhsa_next_free_vgpr 240
		.amdhsa_next_free_sgpr 16
		.amdhsa_reserve_vcc 1
		.amdhsa_float_round_mode_32 0
		.amdhsa_float_round_mode_16_64 0
		.amdhsa_float_denorm_mode_32 3
		.amdhsa_float_denorm_mode_16_64 3
		.amdhsa_dx10_clamp 1
		.amdhsa_ieee_mode 1
		.amdhsa_fp16_overflow 0
		.amdhsa_workgroup_processor_mode 1
		.amdhsa_memory_ordered 1
		.amdhsa_forward_progress 0
		.amdhsa_shared_vgpr_count 0
		.amdhsa_exception_fp_ieee_invalid_op 0
		.amdhsa_exception_fp_denorm_src 0
		.amdhsa_exception_fp_ieee_div_zero 0
		.amdhsa_exception_fp_ieee_overflow 0
		.amdhsa_exception_fp_ieee_underflow 0
		.amdhsa_exception_fp_ieee_inexact 0
		.amdhsa_exception_int_div_zero 0
	.end_amdhsa_kernel
	.text
.Lfunc_end0:
	.size	bluestein_single_fwd_len1275_dim1_sp_op_CI_CI, .Lfunc_end0-bluestein_single_fwd_len1275_dim1_sp_op_CI_CI
                                        ; -- End function
	.section	.AMDGPU.csdata,"",@progbits
; Kernel info:
; codeLenInByte = 23768
; NumSgprs: 18
; NumVgprs: 240
; ScratchSize: 0
; MemoryBound: 0
; FloatMode: 240
; IeeeMode: 1
; LDSByteSize: 30600 bytes/workgroup (compile time only)
; SGPRBlocks: 2
; VGPRBlocks: 29
; NumSGPRsForWavesPerEU: 18
; NumVGPRsForWavesPerEU: 240
; Occupancy: 6
; WaveLimiterHint : 1
; COMPUTE_PGM_RSRC2:SCRATCH_EN: 0
; COMPUTE_PGM_RSRC2:USER_SGPR: 15
; COMPUTE_PGM_RSRC2:TRAP_HANDLER: 0
; COMPUTE_PGM_RSRC2:TGID_X_EN: 1
; COMPUTE_PGM_RSRC2:TGID_Y_EN: 0
; COMPUTE_PGM_RSRC2:TGID_Z_EN: 0
; COMPUTE_PGM_RSRC2:TIDIG_COMP_CNT: 0
	.text
	.p2alignl 7, 3214868480
	.fill 96, 4, 3214868480
	.type	__hip_cuid_4493b7baf2cfda2a,@object ; @__hip_cuid_4493b7baf2cfda2a
	.section	.bss,"aw",@nobits
	.globl	__hip_cuid_4493b7baf2cfda2a
__hip_cuid_4493b7baf2cfda2a:
	.byte	0                               ; 0x0
	.size	__hip_cuid_4493b7baf2cfda2a, 1

	.ident	"AMD clang version 19.0.0git (https://github.com/RadeonOpenCompute/llvm-project roc-6.4.0 25133 c7fe45cf4b819c5991fe208aaa96edf142730f1d)"
	.section	".note.GNU-stack","",@progbits
	.addrsig
	.addrsig_sym __hip_cuid_4493b7baf2cfda2a
	.amdgpu_metadata
---
amdhsa.kernels:
  - .args:
      - .actual_access:  read_only
        .address_space:  global
        .offset:         0
        .size:           8
        .value_kind:     global_buffer
      - .actual_access:  read_only
        .address_space:  global
        .offset:         8
        .size:           8
        .value_kind:     global_buffer
      - .actual_access:  read_only
        .address_space:  global
        .offset:         16
        .size:           8
        .value_kind:     global_buffer
      - .actual_access:  read_only
        .address_space:  global
        .offset:         24
        .size:           8
        .value_kind:     global_buffer
      - .actual_access:  read_only
        .address_space:  global
        .offset:         32
        .size:           8
        .value_kind:     global_buffer
      - .offset:         40
        .size:           8
        .value_kind:     by_value
      - .address_space:  global
        .offset:         48
        .size:           8
        .value_kind:     global_buffer
      - .address_space:  global
        .offset:         56
        .size:           8
        .value_kind:     global_buffer
      - .address_space:  global
        .offset:         64
        .size:           8
        .value_kind:     global_buffer
      - .address_space:  global
        .offset:         72
        .size:           8
        .value_kind:     global_buffer
      - .offset:         80
        .size:           4
        .value_kind:     by_value
      - .address_space:  global
        .offset:         88
        .size:           8
        .value_kind:     global_buffer
      - .address_space:  global
        .offset:         96
        .size:           8
        .value_kind:     global_buffer
    .group_segment_fixed_size: 30600
    .kernarg_segment_align: 8
    .kernarg_segment_size: 104
    .language:       OpenCL C
    .language_version:
      - 2
      - 0
    .max_flat_workgroup_size: 255
    .name:           bluestein_single_fwd_len1275_dim1_sp_op_CI_CI
    .private_segment_fixed_size: 0
    .sgpr_count:     18
    .sgpr_spill_count: 0
    .symbol:         bluestein_single_fwd_len1275_dim1_sp_op_CI_CI.kd
    .uniform_work_group_size: 1
    .uses_dynamic_stack: false
    .vgpr_count:     240
    .vgpr_spill_count: 0
    .wavefront_size: 32
    .workgroup_processor_mode: 1
amdhsa.target:   amdgcn-amd-amdhsa--gfx1100
amdhsa.version:
  - 1
  - 2
...

	.end_amdgpu_metadata
